;; amdgpu-corpus repo=ROCm/rocFFT kind=compiled arch=gfx906 opt=O3
	.text
	.amdgcn_target "amdgcn-amd-amdhsa--gfx906"
	.amdhsa_code_object_version 6
	.protected	fft_rtc_back_len3840_factors_10_6_2_2_2_2_2_2_wgs_128_tpt_128_halfLds_sp_ip_CI_unitstride_sbrr_dirReg ; -- Begin function fft_rtc_back_len3840_factors_10_6_2_2_2_2_2_2_wgs_128_tpt_128_halfLds_sp_ip_CI_unitstride_sbrr_dirReg
	.globl	fft_rtc_back_len3840_factors_10_6_2_2_2_2_2_2_wgs_128_tpt_128_halfLds_sp_ip_CI_unitstride_sbrr_dirReg
	.p2align	8
	.type	fft_rtc_back_len3840_factors_10_6_2_2_2_2_2_2_wgs_128_tpt_128_halfLds_sp_ip_CI_unitstride_sbrr_dirReg,@function
fft_rtc_back_len3840_factors_10_6_2_2_2_2_2_2_wgs_128_tpt_128_halfLds_sp_ip_CI_unitstride_sbrr_dirReg: ; @fft_rtc_back_len3840_factors_10_6_2_2_2_2_2_2_wgs_128_tpt_128_halfLds_sp_ip_CI_unitstride_sbrr_dirReg
; %bb.0:
	s_load_dwordx4 s[8:11], s[4:5], 0x0
	s_load_dwordx2 s[2:3], s[4:5], 0x50
	s_load_dwordx2 s[12:13], s[4:5], 0x18
	v_mov_b32_e32 v3, 0
	v_mov_b32_e32 v1, 0
	s_waitcnt lgkmcnt(0)
	v_cmp_lt_u64_e64 s[0:1], s[10:11], 2
	v_mov_b32_e32 v5, s6
	v_mov_b32_e32 v6, v3
	s_and_b64 vcc, exec, s[0:1]
	v_mov_b32_e32 v2, 0
	s_cbranch_vccnz .LBB0_8
; %bb.1:
	s_load_dwordx2 s[0:1], s[4:5], 0x10
	s_add_u32 s6, s12, 8
	s_addc_u32 s7, s13, 0
	v_mov_b32_e32 v1, 0
	v_mov_b32_e32 v2, 0
	s_waitcnt lgkmcnt(0)
	s_add_u32 s14, s0, 8
	s_addc_u32 s15, s1, 0
	s_mov_b64 s[16:17], 1
.LBB0_2:                                ; =>This Inner Loop Header: Depth=1
	s_load_dwordx2 s[18:19], s[14:15], 0x0
                                        ; implicit-def: $vgpr7_vgpr8
	s_waitcnt lgkmcnt(0)
	v_or_b32_e32 v4, s19, v6
	v_cmp_ne_u64_e32 vcc, 0, v[3:4]
	s_and_saveexec_b64 s[0:1], vcc
	s_xor_b64 s[20:21], exec, s[0:1]
	s_cbranch_execz .LBB0_4
; %bb.3:                                ;   in Loop: Header=BB0_2 Depth=1
	v_cvt_f32_u32_e32 v4, s18
	v_cvt_f32_u32_e32 v7, s19
	s_sub_u32 s0, 0, s18
	s_subb_u32 s1, 0, s19
	v_mac_f32_e32 v4, 0x4f800000, v7
	v_rcp_f32_e32 v4, v4
	v_mul_f32_e32 v4, 0x5f7ffffc, v4
	v_mul_f32_e32 v7, 0x2f800000, v4
	v_trunc_f32_e32 v7, v7
	v_mac_f32_e32 v4, 0xcf800000, v7
	v_cvt_u32_f32_e32 v7, v7
	v_cvt_u32_f32_e32 v4, v4
	v_mul_lo_u32 v8, s0, v7
	v_mul_hi_u32 v9, s0, v4
	v_mul_lo_u32 v11, s1, v4
	v_mul_lo_u32 v10, s0, v4
	v_add_u32_e32 v8, v9, v8
	v_add_u32_e32 v8, v8, v11
	v_mul_hi_u32 v9, v4, v10
	v_mul_lo_u32 v11, v4, v8
	v_mul_hi_u32 v13, v4, v8
	v_mul_hi_u32 v12, v7, v10
	v_mul_lo_u32 v10, v7, v10
	v_mul_hi_u32 v14, v7, v8
	v_add_co_u32_e32 v9, vcc, v9, v11
	v_addc_co_u32_e32 v11, vcc, 0, v13, vcc
	v_mul_lo_u32 v8, v7, v8
	v_add_co_u32_e32 v9, vcc, v9, v10
	v_addc_co_u32_e32 v9, vcc, v11, v12, vcc
	v_addc_co_u32_e32 v10, vcc, 0, v14, vcc
	v_add_co_u32_e32 v8, vcc, v9, v8
	v_addc_co_u32_e32 v9, vcc, 0, v10, vcc
	v_add_co_u32_e32 v4, vcc, v4, v8
	v_addc_co_u32_e32 v7, vcc, v7, v9, vcc
	v_mul_lo_u32 v8, s0, v7
	v_mul_hi_u32 v9, s0, v4
	v_mul_lo_u32 v10, s1, v4
	v_mul_lo_u32 v11, s0, v4
	v_add_u32_e32 v8, v9, v8
	v_add_u32_e32 v8, v8, v10
	v_mul_lo_u32 v12, v4, v8
	v_mul_hi_u32 v13, v4, v11
	v_mul_hi_u32 v14, v4, v8
	;; [unrolled: 1-line block ×3, first 2 shown]
	v_mul_lo_u32 v11, v7, v11
	v_mul_hi_u32 v9, v7, v8
	v_add_co_u32_e32 v12, vcc, v13, v12
	v_addc_co_u32_e32 v13, vcc, 0, v14, vcc
	v_mul_lo_u32 v8, v7, v8
	v_add_co_u32_e32 v11, vcc, v12, v11
	v_addc_co_u32_e32 v10, vcc, v13, v10, vcc
	v_addc_co_u32_e32 v9, vcc, 0, v9, vcc
	v_add_co_u32_e32 v8, vcc, v10, v8
	v_addc_co_u32_e32 v9, vcc, 0, v9, vcc
	v_add_co_u32_e32 v4, vcc, v4, v8
	v_addc_co_u32_e32 v9, vcc, v7, v9, vcc
	v_mad_u64_u32 v[7:8], s[0:1], v5, v9, 0
	v_mul_hi_u32 v10, v5, v4
	v_add_co_u32_e32 v11, vcc, v10, v7
	v_addc_co_u32_e32 v12, vcc, 0, v8, vcc
	v_mad_u64_u32 v[7:8], s[0:1], v6, v4, 0
	v_mad_u64_u32 v[9:10], s[0:1], v6, v9, 0
	v_add_co_u32_e32 v4, vcc, v11, v7
	v_addc_co_u32_e32 v4, vcc, v12, v8, vcc
	v_addc_co_u32_e32 v7, vcc, 0, v10, vcc
	v_add_co_u32_e32 v4, vcc, v4, v9
	v_addc_co_u32_e32 v9, vcc, 0, v7, vcc
	v_mul_lo_u32 v10, s19, v4
	v_mul_lo_u32 v11, s18, v9
	v_mad_u64_u32 v[7:8], s[0:1], s18, v4, 0
	v_add3_u32 v8, v8, v11, v10
	v_sub_u32_e32 v10, v6, v8
	v_mov_b32_e32 v11, s19
	v_sub_co_u32_e32 v7, vcc, v5, v7
	v_subb_co_u32_e64 v10, s[0:1], v10, v11, vcc
	v_subrev_co_u32_e64 v11, s[0:1], s18, v7
	v_subbrev_co_u32_e64 v10, s[0:1], 0, v10, s[0:1]
	v_cmp_le_u32_e64 s[0:1], s19, v10
	v_cndmask_b32_e64 v12, 0, -1, s[0:1]
	v_cmp_le_u32_e64 s[0:1], s18, v11
	v_cndmask_b32_e64 v11, 0, -1, s[0:1]
	v_cmp_eq_u32_e64 s[0:1], s19, v10
	v_cndmask_b32_e64 v10, v12, v11, s[0:1]
	v_add_co_u32_e64 v11, s[0:1], 2, v4
	v_addc_co_u32_e64 v12, s[0:1], 0, v9, s[0:1]
	v_add_co_u32_e64 v13, s[0:1], 1, v4
	v_addc_co_u32_e64 v14, s[0:1], 0, v9, s[0:1]
	v_subb_co_u32_e32 v8, vcc, v6, v8, vcc
	v_cmp_ne_u32_e64 s[0:1], 0, v10
	v_cmp_le_u32_e32 vcc, s19, v8
	v_cndmask_b32_e64 v10, v14, v12, s[0:1]
	v_cndmask_b32_e64 v12, 0, -1, vcc
	v_cmp_le_u32_e32 vcc, s18, v7
	v_cndmask_b32_e64 v7, 0, -1, vcc
	v_cmp_eq_u32_e32 vcc, s19, v8
	v_cndmask_b32_e32 v7, v12, v7, vcc
	v_cmp_ne_u32_e32 vcc, 0, v7
	v_cndmask_b32_e64 v7, v13, v11, s[0:1]
	v_cndmask_b32_e32 v8, v9, v10, vcc
	v_cndmask_b32_e32 v7, v4, v7, vcc
.LBB0_4:                                ;   in Loop: Header=BB0_2 Depth=1
	s_andn2_saveexec_b64 s[0:1], s[20:21]
	s_cbranch_execz .LBB0_6
; %bb.5:                                ;   in Loop: Header=BB0_2 Depth=1
	v_cvt_f32_u32_e32 v4, s18
	s_sub_i32 s20, 0, s18
	v_rcp_iflag_f32_e32 v4, v4
	v_mul_f32_e32 v4, 0x4f7ffffe, v4
	v_cvt_u32_f32_e32 v4, v4
	v_mul_lo_u32 v7, s20, v4
	v_mul_hi_u32 v7, v4, v7
	v_add_u32_e32 v4, v4, v7
	v_mul_hi_u32 v4, v5, v4
	v_mul_lo_u32 v7, v4, s18
	v_add_u32_e32 v8, 1, v4
	v_sub_u32_e32 v7, v5, v7
	v_subrev_u32_e32 v9, s18, v7
	v_cmp_le_u32_e32 vcc, s18, v7
	v_cndmask_b32_e32 v7, v7, v9, vcc
	v_cndmask_b32_e32 v4, v4, v8, vcc
	v_add_u32_e32 v8, 1, v4
	v_cmp_le_u32_e32 vcc, s18, v7
	v_cndmask_b32_e32 v7, v4, v8, vcc
	v_mov_b32_e32 v8, v3
.LBB0_6:                                ;   in Loop: Header=BB0_2 Depth=1
	s_or_b64 exec, exec, s[0:1]
	v_mul_lo_u32 v4, v8, s18
	v_mul_lo_u32 v11, v7, s19
	v_mad_u64_u32 v[9:10], s[0:1], v7, s18, 0
	s_load_dwordx2 s[0:1], s[6:7], 0x0
	s_add_u32 s16, s16, 1
	v_add3_u32 v4, v10, v11, v4
	v_sub_co_u32_e32 v5, vcc, v5, v9
	v_subb_co_u32_e32 v4, vcc, v6, v4, vcc
	s_waitcnt lgkmcnt(0)
	v_mul_lo_u32 v4, s0, v4
	v_mul_lo_u32 v6, s1, v5
	v_mad_u64_u32 v[1:2], s[0:1], s0, v5, v[1:2]
	s_addc_u32 s17, s17, 0
	s_add_u32 s6, s6, 8
	v_add3_u32 v2, v6, v2, v4
	v_mov_b32_e32 v4, s10
	v_mov_b32_e32 v5, s11
	s_addc_u32 s7, s7, 0
	v_cmp_ge_u64_e32 vcc, s[16:17], v[4:5]
	s_add_u32 s14, s14, 8
	s_addc_u32 s15, s15, 0
	s_cbranch_vccnz .LBB0_9
; %bb.7:                                ;   in Loop: Header=BB0_2 Depth=1
	v_mov_b32_e32 v5, v7
	v_mov_b32_e32 v6, v8
	s_branch .LBB0_2
.LBB0_8:
	v_mov_b32_e32 v8, v6
	v_mov_b32_e32 v7, v5
.LBB0_9:
	s_lshl_b64 s[0:1], s[10:11], 3
	s_add_u32 s0, s12, s0
	s_addc_u32 s1, s13, s1
	s_load_dwordx2 s[6:7], s[0:1], 0x0
	s_load_dwordx2 s[10:11], s[4:5], 0x20
                                        ; implicit-def: $vgpr15
                                        ; implicit-def: $vgpr17
                                        ; implicit-def: $vgpr24
                                        ; implicit-def: $vgpr26
                                        ; implicit-def: $vgpr22
                                        ; implicit-def: $vgpr20
                                        ; implicit-def: $vgpr6
                                        ; implicit-def: $vgpr10
                                        ; implicit-def: $vgpr13
                                        ; implicit-def: $vgpr11
                                        ; implicit-def: $vgpr19
	s_waitcnt lgkmcnt(0)
	v_mul_lo_u32 v4, s6, v8
	v_mul_lo_u32 v5, s7, v7
	v_mad_u64_u32 v[2:3], s[0:1], s6, v7, v[1:2]
	v_cmp_gt_u64_e32 vcc, s[10:11], v[7:8]
	v_cmp_le_u64_e64 s[0:1], s[10:11], v[7:8]
	v_add3_u32 v3, v5, v3, v4
                                        ; implicit-def: $vgpr7
                                        ; implicit-def: $vgpr4
                                        ; implicit-def: $vgpr8
	s_and_saveexec_b64 s[4:5], s[0:1]
	s_xor_b64 s[0:1], exec, s[4:5]
	s_cbranch_execz .LBB0_11
; %bb.10:
	v_mov_b32_e32 v1, 0
	v_or_b32_e32 v15, 0x80, v0
	v_or_b32_e32 v17, 0x100, v0
	;; [unrolled: 1-line block ×13, first 2 shown]
	v_mov_b32_e32 v16, v1
	v_mov_b32_e32 v18, v1
	;; [unrolled: 1-line block ×6, first 2 shown]
	v_or_b32_e32 v19, 0x700, v0
.LBB0_11:
	s_or_saveexec_b64 s[4:5], s[0:1]
	v_lshlrev_b64 v[2:3], 3, v[2:3]
	v_lshlrev_b32_e32 v90, 3, v0
                                        ; implicit-def: $vgpr72
                                        ; implicit-def: $vgpr83
                                        ; implicit-def: $vgpr85
                                        ; implicit-def: $vgpr87
                                        ; implicit-def: $vgpr89
                                        ; implicit-def: $vgpr49
                                        ; implicit-def: $vgpr61
                                        ; implicit-def: $vgpr63
                                        ; implicit-def: $vgpr67
                                        ; implicit-def: $vgpr75
                                        ; implicit-def: $vgpr29
                                        ; implicit-def: $vgpr41
                                        ; implicit-def: $vgpr43
                                        ; implicit-def: $vgpr45
                                        ; implicit-def: $vgpr47
                                        ; implicit-def: $vgpr39
                                        ; implicit-def: $vgpr37
                                        ; implicit-def: $vgpr35
                                        ; implicit-def: $vgpr33
                                        ; implicit-def: $vgpr31
                                        ; implicit-def: $vgpr59
                                        ; implicit-def: $vgpr57
                                        ; implicit-def: $vgpr55
                                        ; implicit-def: $vgpr53
                                        ; implicit-def: $vgpr51
                                        ; implicit-def: $vgpr81
                                        ; implicit-def: $vgpr79
                                        ; implicit-def: $vgpr77
                                        ; implicit-def: $vgpr65
                                        ; implicit-def: $vgpr70
	s_xor_b64 exec, exec, s[4:5]
	s_cbranch_execz .LBB0_13
; %bb.12:
	v_mov_b32_e32 v1, s3
	v_add_co_u32_e64 v5, s[0:1], s2, v2
	v_addc_co_u32_e64 v1, s[0:1], v1, v3, s[0:1]
	v_add_co_u32_e64 v14, s[0:1], v5, v90
	v_or_b32_e32 v20, 0x300, v0
	v_addc_co_u32_e64 v15, s[0:1], 0, v1, s[0:1]
	v_lshlrev_b32_e32 v4, 3, v20
	v_add_co_u32_e64 v16, s[0:1], v5, v4
	v_or_b32_e32 v4, 0x480, v0
	v_addc_co_u32_e64 v17, s[0:1], 0, v1, s[0:1]
	v_lshlrev_b32_e32 v6, 3, v4
	;; [unrolled: 4-line block ×3, first 2 shown]
	v_add_co_u32_e64 v27, s[0:1], v5, v6
	v_addc_co_u32_e64 v28, s[0:1], 0, v1, s[0:1]
	v_or_b32_e32 v6, 0x3c00, v90
	v_add_co_u32_e64 v29, s[0:1], v5, v6
	v_addc_co_u32_e64 v30, s[0:1], 0, v1, s[0:1]
	v_or_b32_e32 v6, 0x4800, v90
	;; [unrolled: 3-line block ×5, first 2 shown]
	v_add_co_u32_e64 v37, s[0:1], v5, v6
	v_or_b32_e32 v22, 0x200, v0
	v_addc_co_u32_e64 v38, s[0:1], 0, v1, s[0:1]
	v_lshlrev_b32_e32 v6, 3, v22
	v_add_co_u32_e64 v39, s[0:1], v5, v6
	v_or_b32_e32 v6, 0x380, v0
	v_addc_co_u32_e64 v40, s[0:1], 0, v1, s[0:1]
	v_lshlrev_b32_e32 v7, 3, v6
	;; [unrolled: 4-line block ×4, first 2 shown]
	v_add_co_u32_e64 v45, s[0:1], v5, v9
	v_addc_co_u32_e64 v46, s[0:1], 0, v1, s[0:1]
	v_or_b32_e32 v9, 0x4000, v90
	v_add_co_u32_e64 v47, s[0:1], v5, v9
	v_addc_co_u32_e64 v48, s[0:1], 0, v1, s[0:1]
	v_or_b32_e32 v9, 0x4c00, v90
	;; [unrolled: 3-line block ×5, first 2 shown]
	v_add_co_u32_e64 v93, s[0:1], v5, v9
	v_or_b32_e32 v24, 0x280, v0
	v_addc_co_u32_e64 v94, s[0:1], 0, v1, s[0:1]
	v_lshlrev_b32_e32 v9, 3, v24
	v_add_co_u32_e64 v95, s[0:1], v5, v9
	v_or_b32_e32 v10, 0x400, v0
	v_addc_co_u32_e64 v96, s[0:1], 0, v1, s[0:1]
	v_lshlrev_b32_e32 v9, 3, v10
	;; [unrolled: 4-line block ×4, first 2 shown]
	v_add_co_u32_e64 v101, s[0:1], v5, v9
	v_addc_co_u32_e64 v102, s[0:1], 0, v1, s[0:1]
	v_or_b32_e32 v9, 0x4400, v90
	v_add_co_u32_e64 v103, s[0:1], v5, v9
	v_addc_co_u32_e64 v104, s[0:1], 0, v1, s[0:1]
	v_or_b32_e32 v9, 0x5000, v90
	;; [unrolled: 3-line block ×5, first 2 shown]
	v_add_co_u32_e64 v111, s[0:1], v5, v9
	v_addc_co_u32_e64 v112, s[0:1], 0, v1, s[0:1]
	global_load_dwordx2 v[82:83], v[16:17], off
	global_load_dwordx2 v[64:65], v[25:26], off
	;; [unrolled: 1-line block ×15, first 2 shown]
                                        ; kill: killed $vgpr27 killed $vgpr28
                                        ; kill: killed $vgpr45 killed $vgpr46
                                        ; kill: killed $vgpr47 killed $vgpr48
                                        ; kill: killed $vgpr58 killed $vgpr59
                                        ; kill: killed $vgpr68 killed $vgpr69
                                        ; kill: killed $vgpr29 killed $vgpr30
                                        ; kill: killed $vgpr31 killed $vgpr32
                                        ; kill: killed $vgpr33 killed $vgpr34
                                        ; kill: killed $vgpr39 killed $vgpr40
                                        ; kill: killed $vgpr16 killed $vgpr17
                                        ; kill: killed $vgpr35 killed $vgpr36
                                        ; kill: killed $vgpr41 killed $vgpr42
                                        ; kill: killed $vgpr25 killed $vgpr26
                                        ; kill: killed $vgpr37 killed $vgpr38
                                        ; kill: killed $vgpr43 killed $vgpr44
	global_load_dwordx2 v[74:75], v[91:92], off
	global_load_dwordx2 v[71:72], v[14:15], off
	s_nop 0
	global_load_dwordx2 v[48:49], v[14:15], off offset:1024
	global_load_dwordx2 v[69:70], v[14:15], off offset:3072
	;; [unrolled: 1-line block ×3, first 2 shown]
	global_load_dwordx2 v[58:59], v[93:94], off
	global_load_dwordx2 v[30:31], v[95:96], off
	;; [unrolled: 1-line block ×10, first 2 shown]
	v_mov_b32_e32 v1, 0
	v_or_b32_e32 v26, 0x180, v0
	v_mov_b32_e32 v27, v1
	v_mov_b32_e32 v21, v1
	v_or_b32_e32 v15, 0x80, v0
	v_mov_b32_e32 v16, v1
	;; [unrolled: 3-line block ×3, first 2 shown]
	v_mov_b32_e32 v25, v1
.LBB0_13:
	s_or_b64 exec, exec, s[4:5]
	s_waitcnt vmcnt(25)
	v_add_f32_e32 v9, v84, v86
	s_waitcnt vmcnt(13)
	v_fma_f32 v9, -0.5, v9, v71
	v_sub_f32_e32 v12, v83, v89
	v_mov_b32_e32 v14, v9
	v_fmac_f32_e32 v14, 0xbf737871, v12
	v_sub_f32_e32 v68, v85, v87
	v_sub_f32_e32 v73, v82, v84
	;; [unrolled: 1-line block ×3, first 2 shown]
	v_fmac_f32_e32 v9, 0x3f737871, v12
	v_fmac_f32_e32 v14, 0xbf167918, v68
	v_add_f32_e32 v73, v73, v91
	v_fmac_f32_e32 v9, 0x3f167918, v68
	v_fmac_f32_e32 v14, 0x3e9e377a, v73
	v_fmac_f32_e32 v9, 0x3e9e377a, v73
	v_add_f32_e32 v73, v82, v88
	v_add_f32_e32 v5, v71, v82
	v_fmac_f32_e32 v71, -0.5, v73
	v_mov_b32_e32 v73, v71
	v_fmac_f32_e32 v73, 0x3f737871, v68
	v_sub_f32_e32 v91, v84, v82
	v_sub_f32_e32 v92, v86, v88
	v_fmac_f32_e32 v71, 0xbf737871, v68
	v_add_f32_e32 v5, v5, v84
	v_fmac_f32_e32 v73, 0xbf167918, v12
	v_add_f32_e32 v91, v91, v92
	;; [unrolled: 2-line block ×3, first 2 shown]
	v_add_f32_e32 v5, v5, v86
	v_fmac_f32_e32 v73, 0x3e9e377a, v91
	v_fmac_f32_e32 v71, 0x3e9e377a, v91
	v_fma_f32 v91, -0.5, v68, v72
	v_add_f32_e32 v5, v5, v88
	v_sub_f32_e32 v68, v82, v88
	v_mov_b32_e32 v88, v91
	v_fmac_f32_e32 v88, 0x3f737871, v68
	v_sub_f32_e32 v82, v84, v86
	v_sub_f32_e32 v84, v83, v85
	;; [unrolled: 1-line block ×3, first 2 shown]
	v_fmac_f32_e32 v91, 0xbf737871, v68
	v_fmac_f32_e32 v88, 0x3f167918, v82
	v_add_f32_e32 v84, v84, v86
	v_fmac_f32_e32 v91, 0xbf167918, v82
	v_fmac_f32_e32 v88, 0x3e9e377a, v84
	;; [unrolled: 1-line block ×3, first 2 shown]
	v_add_f32_e32 v84, v83, v89
	v_add_f32_e32 v12, v72, v83
	v_fmac_f32_e32 v72, -0.5, v84
	v_mov_b32_e32 v92, v72
	v_fmac_f32_e32 v92, 0xbf737871, v82
	v_fmac_f32_e32 v72, 0x3f737871, v82
	;; [unrolled: 1-line block ×4, first 2 shown]
	s_waitcnt vmcnt(11)
	v_add_f32_e32 v68, v64, v69
	v_add_f32_e32 v68, v76, v68
	v_sub_f32_e32 v83, v85, v83
	v_sub_f32_e32 v84, v87, v89
	v_add_f32_e32 v68, v78, v68
	v_add_f32_e32 v83, v83, v84
	;; [unrolled: 1-line block ×4, first 2 shown]
	v_fmac_f32_e32 v92, 0x3e9e377a, v83
	v_fmac_f32_e32 v72, 0x3e9e377a, v83
	v_fma_f32 v83, -0.5, v68, v69
	v_add_f32_e32 v12, v12, v85
	v_sub_f32_e32 v68, v65, v81
	v_mov_b32_e32 v84, v83
	v_add_f32_e32 v12, v12, v87
	v_fmac_f32_e32 v84, 0xbf737871, v68
	v_sub_f32_e32 v85, v77, v79
	v_sub_f32_e32 v86, v64, v76
	;; [unrolled: 1-line block ×3, first 2 shown]
	v_fmac_f32_e32 v83, 0x3f737871, v68
	v_fmac_f32_e32 v84, 0xbf167918, v85
	v_add_f32_e32 v86, v87, v86
	v_fmac_f32_e32 v83, 0x3f167918, v85
	v_fmac_f32_e32 v84, 0x3e9e377a, v86
	;; [unrolled: 1-line block ×3, first 2 shown]
	v_add_f32_e32 v86, v80, v64
	v_fmac_f32_e32 v69, -0.5, v86
	v_mov_b32_e32 v86, v69
	v_fmac_f32_e32 v86, 0x3f737871, v85
	v_fmac_f32_e32 v69, 0xbf737871, v85
	;; [unrolled: 1-line block ×4, first 2 shown]
	v_add_f32_e32 v68, v65, v70
	v_add_f32_e32 v12, v12, v89
	v_sub_f32_e32 v87, v76, v64
	v_sub_f32_e32 v89, v78, v80
	v_add_f32_e32 v68, v77, v68
	v_add_f32_e32 v87, v89, v87
	;; [unrolled: 1-line block ×3, first 2 shown]
	v_fmac_f32_e32 v86, 0x3e9e377a, v87
	v_fmac_f32_e32 v69, 0x3e9e377a, v87
	v_add_f32_e32 v87, v81, v68
	v_add_f32_e32 v68, v79, v77
	v_fma_f32 v85, -0.5, v68, v70
	v_sub_f32_e32 v64, v64, v80
	v_mov_b32_e32 v68, v85
	v_fmac_f32_e32 v68, 0x3f737871, v64
	v_sub_f32_e32 v76, v76, v78
	v_sub_f32_e32 v78, v65, v77
	;; [unrolled: 1-line block ×3, first 2 shown]
	v_fmac_f32_e32 v85, 0xbf737871, v64
	v_fmac_f32_e32 v68, 0x3f167918, v76
	v_add_f32_e32 v78, v80, v78
	v_fmac_f32_e32 v85, 0xbf167918, v76
	v_fmac_f32_e32 v68, 0x3e9e377a, v78
	;; [unrolled: 1-line block ×3, first 2 shown]
	v_add_f32_e32 v78, v81, v65
	v_fmac_f32_e32 v70, -0.5, v78
	v_mov_b32_e32 v89, v70
	v_sub_f32_e32 v65, v77, v65
	v_sub_f32_e32 v77, v79, v81
	v_fmac_f32_e32 v70, 0x3f737871, v76
	v_fmac_f32_e32 v89, 0xbf737871, v76
	v_add_f32_e32 v65, v77, v65
	v_fmac_f32_e32 v70, 0xbf167918, v64
	v_mul_f32_e32 v96, 0xbf167918, v85
	v_fmac_f32_e32 v89, 0x3f167918, v64
	v_fmac_f32_e32 v70, 0x3e9e377a, v65
	;; [unrolled: 1-line block ×4, first 2 shown]
	v_mul_f32_e32 v93, 0xbf167918, v68
	v_mul_f32_e32 v95, 0xbf737871, v70
	v_add_f32_e32 v80, v9, v96
	v_mul_f32_e32 v98, 0x3f737871, v86
	v_mul_f32_e32 v99, 0xbf4f1bbd, v85
	v_sub_f32_e32 v85, v9, v96
	v_add_f32_e32 v9, v62, v66
	v_fmac_f32_e32 v93, 0x3f4f1bbd, v84
	v_mul_f32_e32 v94, 0xbf737871, v89
	v_fmac_f32_e32 v95, 0xbe9e377a, v69
	v_mul_f32_e32 v97, 0x3f167918, v84
	;; [unrolled: 2-line block ×3, first 2 shown]
	v_fma_f32 v9, -0.5, v9, v48
	v_add_f32_e32 v76, v5, v82
	v_add_f32_e32 v77, v14, v93
	v_fmac_f32_e32 v94, 0x3e9e377a, v86
	v_add_f32_e32 v79, v71, v95
	v_add_f32_e32 v64, v12, v87
	v_fmac_f32_e32 v97, 0x3f4f1bbd, v68
	v_fmac_f32_e32 v89, 0x3f737871, v69
	;; [unrolled: 1-line block ×3, first 2 shown]
	v_sub_f32_e32 v81, v5, v82
	v_sub_f32_e32 v82, v14, v93
	;; [unrolled: 1-line block ×5, first 2 shown]
	v_mov_b32_e32 v14, v9
	v_add_f32_e32 v78, v73, v94
	v_add_f32_e32 v65, v88, v97
	;; [unrolled: 1-line block ×4, first 2 shown]
	v_sub_f32_e32 v83, v73, v94
	v_sub_f32_e32 v86, v88, v97
	;; [unrolled: 1-line block ×4, first 2 shown]
	v_fmac_f32_e32 v14, 0xbf737871, v12
	v_sub_f32_e32 v88, v63, v67
	v_sub_f32_e32 v89, v60, v62
	;; [unrolled: 1-line block ×3, first 2 shown]
	v_fmac_f32_e32 v9, 0x3f737871, v12
	v_fmac_f32_e32 v14, 0xbf167918, v88
	v_add_f32_e32 v89, v89, v91
	v_fmac_f32_e32 v9, 0x3f167918, v88
	v_fmac_f32_e32 v14, 0x3e9e377a, v89
	;; [unrolled: 1-line block ×3, first 2 shown]
	v_add_f32_e32 v89, v60, v74
	v_add_f32_e32 v5, v48, v60
	v_fmac_f32_e32 v48, -0.5, v89
	v_mov_b32_e32 v89, v48
	v_add_f32_e32 v68, v92, v98
	v_sub_f32_e32 v87, v92, v98
	v_fmac_f32_e32 v89, 0x3f737871, v88
	v_sub_f32_e32 v91, v62, v60
	v_sub_f32_e32 v92, v66, v74
	v_fmac_f32_e32 v48, 0xbf737871, v88
	v_add_f32_e32 v5, v5, v62
	v_fmac_f32_e32 v89, 0xbf167918, v12
	v_add_f32_e32 v91, v91, v92
	;; [unrolled: 2-line block ×3, first 2 shown]
	v_add_f32_e32 v5, v5, v66
	v_fmac_f32_e32 v89, 0x3e9e377a, v91
	v_fmac_f32_e32 v48, 0x3e9e377a, v91
	v_fma_f32 v91, -0.5, v88, v49
	v_add_f32_e32 v5, v5, v74
	v_sub_f32_e32 v60, v60, v74
	v_mov_b32_e32 v74, v91
	v_fmac_f32_e32 v74, 0x3f737871, v60
	v_sub_f32_e32 v62, v62, v66
	v_sub_f32_e32 v66, v61, v63
	;; [unrolled: 1-line block ×3, first 2 shown]
	v_fmac_f32_e32 v91, 0xbf737871, v60
	v_fmac_f32_e32 v74, 0x3f167918, v62
	v_add_f32_e32 v66, v66, v88
	v_fmac_f32_e32 v91, 0xbf167918, v62
	v_fmac_f32_e32 v74, 0x3e9e377a, v66
	;; [unrolled: 1-line block ×3, first 2 shown]
	v_add_f32_e32 v66, v61, v75
	v_add_f32_e32 v12, v49, v61
	v_fmac_f32_e32 v49, -0.5, v66
	v_mov_b32_e32 v88, v49
	v_fmac_f32_e32 v88, 0xbf737871, v62
	v_fmac_f32_e32 v49, 0x3f737871, v62
	;; [unrolled: 1-line block ×4, first 2 shown]
	v_add_f32_e32 v60, v52, v50
	v_add_f32_e32 v60, v54, v60
	;; [unrolled: 1-line block ×4, first 2 shown]
	v_sub_f32_e32 v61, v63, v61
	v_sub_f32_e32 v63, v67, v75
	s_waitcnt vmcnt(9)
	v_add_f32_e32 v62, v58, v60
	v_add_f32_e32 v60, v56, v54
	;; [unrolled: 1-line block ×3, first 2 shown]
	v_fma_f32 v63, -0.5, v60, v50
	v_add_f32_e32 v12, v12, v67
	v_fmac_f32_e32 v88, 0x3e9e377a, v61
	v_fmac_f32_e32 v49, 0x3e9e377a, v61
	v_sub_f32_e32 v60, v53, v59
	v_mov_b32_e32 v61, v63
	v_add_f32_e32 v12, v12, v75
	v_fmac_f32_e32 v61, 0xbf737871, v60
	v_sub_f32_e32 v66, v55, v57
	v_sub_f32_e32 v67, v52, v54
	;; [unrolled: 1-line block ×3, first 2 shown]
	v_fmac_f32_e32 v63, 0x3f737871, v60
	v_fmac_f32_e32 v61, 0xbf167918, v66
	v_add_f32_e32 v67, v75, v67
	v_fmac_f32_e32 v63, 0x3f167918, v66
	v_fmac_f32_e32 v61, 0x3e9e377a, v67
	v_fmac_f32_e32 v63, 0x3e9e377a, v67
	v_add_f32_e32 v67, v58, v52
	v_fmac_f32_e32 v50, -0.5, v67
	v_mov_b32_e32 v67, v50
	v_fmac_f32_e32 v67, 0x3f737871, v66
	v_fmac_f32_e32 v50, 0xbf737871, v66
	;; [unrolled: 1-line block ×4, first 2 shown]
	v_add_f32_e32 v60, v53, v51
	v_sub_f32_e32 v75, v54, v52
	v_sub_f32_e32 v92, v56, v58
	v_add_f32_e32 v60, v55, v60
	v_add_f32_e32 v75, v92, v75
	;; [unrolled: 1-line block ×3, first 2 shown]
	v_fmac_f32_e32 v67, 0x3e9e377a, v75
	v_fmac_f32_e32 v50, 0x3e9e377a, v75
	v_add_f32_e32 v75, v59, v60
	v_add_f32_e32 v60, v57, v55
	v_fma_f32 v66, -0.5, v60, v51
	v_sub_f32_e32 v52, v52, v58
	v_mov_b32_e32 v60, v66
	v_fmac_f32_e32 v60, 0x3f737871, v52
	v_sub_f32_e32 v54, v54, v56
	v_sub_f32_e32 v56, v53, v55
	;; [unrolled: 1-line block ×3, first 2 shown]
	v_fmac_f32_e32 v66, 0xbf737871, v52
	v_fmac_f32_e32 v60, 0x3f167918, v54
	v_add_f32_e32 v56, v58, v56
	v_fmac_f32_e32 v66, 0xbf167918, v54
	v_fmac_f32_e32 v60, 0x3e9e377a, v56
	;; [unrolled: 1-line block ×3, first 2 shown]
	v_add_f32_e32 v56, v59, v53
	v_fmac_f32_e32 v51, -0.5, v56
	v_mov_b32_e32 v92, v51
	v_fmac_f32_e32 v92, 0xbf737871, v54
	v_sub_f32_e32 v53, v55, v53
	v_sub_f32_e32 v55, v57, v59
	v_fmac_f32_e32 v51, 0x3f737871, v54
	v_mul_f32_e32 v96, 0xbf167918, v66
	v_fmac_f32_e32 v92, 0x3f167918, v52
	v_add_f32_e32 v53, v55, v53
	v_fmac_f32_e32 v51, 0xbf167918, v52
	v_fmac_f32_e32 v96, 0xbf4f1bbd, v63
	v_mul_f32_e32 v99, 0xbf4f1bbd, v66
	v_fmac_f32_e32 v92, 0x3e9e377a, v53
	v_fmac_f32_e32 v51, 0x3e9e377a, v53
	v_mul_f32_e32 v93, 0xbf167918, v60
	v_add_f32_e32 v56, v9, v96
	v_mul_f32_e32 v98, 0x3f737871, v67
	v_fmac_f32_e32 v99, 0x3f167918, v63
	v_sub_f32_e32 v63, v9, v96
	s_waitcnt vmcnt(3)
	v_add_f32_e32 v9, v42, v44
	v_fmac_f32_e32 v93, 0x3f4f1bbd, v61
	v_mul_f32_e32 v94, 0xbf737871, v92
	v_mul_f32_e32 v95, 0xbf737871, v51
	v_fmac_f32_e32 v98, 0x3e9e377a, v92
	v_mul_f32_e32 v92, 0xbe9e377a, v51
	v_fma_f32 v9, -0.5, v9, v28
	v_add_f32_e32 v53, v14, v93
	v_fmac_f32_e32 v94, 0x3e9e377a, v67
	v_fmac_f32_e32 v95, 0xbe9e377a, v50
	v_add_f32_e32 v58, v12, v75
	v_mul_f32_e32 v97, 0x3f167918, v61
	v_fmac_f32_e32 v92, 0x3f737871, v50
	v_sub_f32_e32 v50, v14, v93
	v_sub_f32_e32 v67, v12, v75
	s_waitcnt vmcnt(1)
	v_sub_f32_e32 v12, v41, v47
	v_mov_b32_e32 v14, v9
	v_add_f32_e32 v52, v5, v62
	v_add_f32_e32 v54, v89, v94
	;; [unrolled: 1-line block ×3, first 2 shown]
	v_fmac_f32_e32 v97, 0x3f4f1bbd, v60
	v_add_f32_e32 v60, v88, v98
	v_add_f32_e32 v61, v49, v92
	v_add_f32_e32 v66, v91, v99
	v_sub_f32_e32 v57, v5, v62
	v_sub_f32_e32 v51, v89, v94
	;; [unrolled: 1-line block ×6, first 2 shown]
	v_fmac_f32_e32 v14, 0xbf737871, v12
	v_sub_f32_e32 v48, v43, v45
	v_sub_f32_e32 v49, v40, v42
	;; [unrolled: 1-line block ×3, first 2 shown]
	v_fmac_f32_e32 v9, 0x3f737871, v12
	v_fmac_f32_e32 v14, 0xbf167918, v48
	v_add_f32_e32 v49, v49, v91
	v_fmac_f32_e32 v9, 0x3f167918, v48
	v_fmac_f32_e32 v14, 0x3e9e377a, v49
	;; [unrolled: 1-line block ×3, first 2 shown]
	v_add_f32_e32 v49, v40, v46
	v_add_f32_e32 v5, v28, v40
	v_fmac_f32_e32 v28, -0.5, v49
	v_mov_b32_e32 v49, v28
	v_add_f32_e32 v5, v5, v42
	v_fmac_f32_e32 v49, 0x3f737871, v48
	v_fmac_f32_e32 v28, 0xbf737871, v48
	v_add_f32_e32 v48, v43, v45
	v_add_f32_e32 v5, v5, v44
	v_sub_f32_e32 v91, v42, v40
	v_sub_f32_e32 v92, v44, v46
	v_fma_f32 v48, -0.5, v48, v29
	v_add_f32_e32 v5, v5, v46
	v_fmac_f32_e32 v49, 0xbf167918, v12
	v_add_f32_e32 v91, v91, v92
	v_fmac_f32_e32 v28, 0x3f167918, v12
	v_sub_f32_e32 v40, v40, v46
	v_mov_b32_e32 v46, v48
	v_fmac_f32_e32 v49, 0x3e9e377a, v91
	v_fmac_f32_e32 v28, 0x3e9e377a, v91
	;; [unrolled: 1-line block ×3, first 2 shown]
	v_sub_f32_e32 v42, v42, v44
	v_sub_f32_e32 v44, v41, v43
	;; [unrolled: 1-line block ×3, first 2 shown]
	v_fmac_f32_e32 v48, 0xbf737871, v40
	v_fmac_f32_e32 v46, 0x3f167918, v42
	v_add_f32_e32 v44, v44, v91
	v_fmac_f32_e32 v48, 0xbf167918, v42
	v_fmac_f32_e32 v46, 0x3e9e377a, v44
	;; [unrolled: 1-line block ×3, first 2 shown]
	v_add_f32_e32 v44, v41, v47
	v_add_f32_e32 v12, v29, v41
	v_fmac_f32_e32 v29, -0.5, v44
	v_mov_b32_e32 v44, v29
	v_add_f32_e32 v12, v12, v43
	v_fmac_f32_e32 v44, 0xbf737871, v42
	v_sub_f32_e32 v41, v43, v41
	v_sub_f32_e32 v43, v45, v47
	v_fmac_f32_e32 v29, 0x3f737871, v42
	v_fmac_f32_e32 v44, 0x3f167918, v40
	v_add_f32_e32 v41, v41, v43
	v_fmac_f32_e32 v29, 0xbf167918, v40
	v_fmac_f32_e32 v44, 0x3e9e377a, v41
	;; [unrolled: 1-line block ×3, first 2 shown]
	v_add_f32_e32 v41, v36, v34
	v_fma_f32 v41, -0.5, v41, v30
	v_add_f32_e32 v12, v12, v45
	s_waitcnt vmcnt(0)
	v_sub_f32_e32 v42, v33, v39
	v_mov_b32_e32 v43, v41
	v_add_f32_e32 v12, v12, v47
	v_fmac_f32_e32 v43, 0xbf737871, v42
	v_sub_f32_e32 v45, v35, v37
	v_sub_f32_e32 v47, v32, v34
	;; [unrolled: 1-line block ×3, first 2 shown]
	v_fmac_f32_e32 v41, 0x3f737871, v42
	v_fmac_f32_e32 v43, 0xbf167918, v45
	v_add_f32_e32 v47, v91, v47
	v_fmac_f32_e32 v41, 0x3f167918, v45
	v_fmac_f32_e32 v43, 0x3e9e377a, v47
	;; [unrolled: 1-line block ×3, first 2 shown]
	v_add_f32_e32 v47, v38, v32
	v_add_f32_e32 v40, v32, v30
	v_fmac_f32_e32 v30, -0.5, v47
	v_mov_b32_e32 v47, v30
	v_add_f32_e32 v40, v34, v40
	v_fmac_f32_e32 v47, 0x3f737871, v45
	v_fmac_f32_e32 v30, 0xbf737871, v45
	v_add_f32_e32 v45, v37, v35
	v_add_f32_e32 v40, v36, v40
	v_sub_f32_e32 v91, v34, v32
	v_sub_f32_e32 v92, v36, v38
	v_fma_f32 v45, -0.5, v45, v31
	v_add_f32_e32 v40, v38, v40
	v_fmac_f32_e32 v47, 0xbf167918, v42
	v_add_f32_e32 v91, v92, v91
	v_fmac_f32_e32 v30, 0x3f167918, v42
	v_sub_f32_e32 v32, v32, v38
	v_mov_b32_e32 v38, v45
	v_fmac_f32_e32 v47, 0x3e9e377a, v91
	v_fmac_f32_e32 v30, 0x3e9e377a, v91
	;; [unrolled: 1-line block ×3, first 2 shown]
	v_sub_f32_e32 v34, v34, v36
	v_sub_f32_e32 v36, v33, v35
	;; [unrolled: 1-line block ×3, first 2 shown]
	v_fmac_f32_e32 v45, 0xbf737871, v32
	v_fmac_f32_e32 v38, 0x3f167918, v34
	v_add_f32_e32 v36, v91, v36
	v_fmac_f32_e32 v45, 0xbf167918, v34
	v_fmac_f32_e32 v38, 0x3e9e377a, v36
	;; [unrolled: 1-line block ×3, first 2 shown]
	v_add_f32_e32 v36, v39, v33
	v_add_f32_e32 v42, v33, v31
	v_fmac_f32_e32 v31, -0.5, v36
	v_mov_b32_e32 v93, v31
	v_add_f32_e32 v42, v35, v42
	v_fmac_f32_e32 v93, 0xbf737871, v34
	v_sub_f32_e32 v33, v35, v33
	v_sub_f32_e32 v35, v37, v39
	v_fmac_f32_e32 v93, 0x3f167918, v32
	v_add_f32_e32 v33, v35, v33
	v_fmac_f32_e32 v31, 0x3f737871, v34
	v_add_f32_e32 v42, v37, v42
	v_fmac_f32_e32 v93, 0x3e9e377a, v33
	v_fmac_f32_e32 v31, 0xbf167918, v32
	v_add_f32_e32 v42, v39, v42
	v_fmac_f32_e32 v31, 0x3e9e377a, v33
	v_mul_f32_e32 v39, 0xbf167918, v38
	v_mul_f32_e32 v96, 0xbf737871, v93
	v_add_f32_e32 v59, v74, v97
	v_sub_f32_e32 v74, v74, v97
	v_add_f32_e32 v32, v5, v40
	v_fmac_f32_e32 v39, 0x3f4f1bbd, v43
	v_fmac_f32_e32 v96, 0x3e9e377a, v47
	v_mul_f32_e32 v97, 0xbf737871, v31
	v_mul_f32_e32 v98, 0xbf167918, v45
	;; [unrolled: 1-line block ×4, first 2 shown]
	v_sub_f32_e32 v37, v5, v40
	v_mul_u32_u24_e32 v5, 10, v0
	v_add_f32_e32 v33, v14, v39
	v_fmac_f32_e32 v97, 0xbe9e377a, v30
	v_fmac_f32_e32 v98, 0xbf4f1bbd, v41
	v_mul_f32_e32 v43, 0x3f167918, v43
	v_fmac_f32_e32 v47, 0x3e9e377a, v93
	v_fmac_f32_e32 v99, 0x3f737871, v30
	v_sub_f32_e32 v30, v14, v39
	v_lshl_add_u32 v14, v5, 2, 0
	v_mul_i32_i24_e32 v5, 10, v15
	v_add_f32_e32 v36, v9, v98
	v_fmac_f32_e32 v43, 0x3f4f1bbd, v38
	v_add_f32_e32 v93, v44, v47
	v_mul_f32_e32 v45, 0xbf4f1bbd, v45
	v_sub_f32_e32 v39, v9, v98
	v_sub_f32_e32 v98, v44, v47
	v_lshl_add_u32 v44, v5, 2, 0
	v_mul_i32_i24_e32 v5, 10, v17
	v_add_f32_e32 v35, v28, v97
	v_add_f32_e32 v92, v46, v43
	v_fmac_f32_e32 v45, 0x3f167918, v41
	v_sub_f32_e32 v38, v28, v97
	v_sub_f32_e32 v97, v46, v43
	v_lshl_add_u32 v46, v5, 2, 0
	s_movk_i32 s0, 0xffdc
	v_add_f32_e32 v34, v49, v96
	v_add_f32_e32 v95, v48, v45
	v_sub_f32_e32 v31, v49, v96
	v_sub_f32_e32 v100, v48, v45
	v_mad_i32_i24 v45, v0, s0, v14
	v_lshl_add_u32 v47, v24, 2, 0
	v_mad_i32_i24 v9, v17, s0, v46
	v_add_f32_e32 v91, v12, v42
	v_add_f32_e32 v94, v29, v99
	v_sub_f32_e32 v96, v12, v42
	v_sub_f32_e32 v99, v29, v99
	ds_write2_b64 v14, v[76:77], v[78:79] offset1:1
	ds_write2_b64 v14, v[80:81], v[82:83] offset0:2 offset1:3
	ds_write_b64 v14, v[84:85] offset:32
	ds_write2_b64 v44, v[52:53], v[54:55] offset1:1
	ds_write2_b64 v44, v[56:57], v[50:51] offset0:2 offset1:3
	ds_write_b64 v44, v[62:63] offset:32
	;; [unrolled: 3-line block ×3, first 2 shown]
	s_waitcnt lgkmcnt(0)
	s_barrier
	ds_read2st64_b32 v[28:29], v45 offset1:12
	v_lshl_add_u32 v50, v7, 2, 0
	ds_read2st64_b32 v[103:104], v45 offset0:28 offset1:30
	ds_read2st64_b32 v[42:43], v45 offset0:40 offset1:42
	ds_read2st64_b32 v[32:33], v45 offset0:48 offset1:50
	v_mad_i32_i24 v5, v15, s0, v44
	ds_read2st64_b32 v[105:106], v45 offset0:18 offset1:22
	ds_read2st64_b32 v[40:41], v45 offset0:32 offset1:34
	;; [unrolled: 1-line block ×6, first 2 shown]
	v_lshl_add_u32 v48, v26, 2, 0
	ds_read_b32 v101, v47
	ds_read_b32 v123, v50
	;; [unrolled: 1-line block ×3, first 2 shown]
	ds_read2st64_b32 v[34:35], v45 offset0:36 offset1:38
	ds_read2st64_b32 v[30:31], v45 offset0:56 offset1:58
	v_lshl_add_u32 v49, v22, 2, 0
	ds_read_b32 v55, v9
	ds_read_b32 v62, v5
	;; [unrolled: 1-line block ×3, first 2 shown]
	s_waitcnt lgkmcnt(0)
	s_barrier
	ds_write2_b64 v14, v[64:65], v[68:69] offset1:1
	ds_write2_b64 v14, v[70:71], v[86:87] offset0:2 offset1:3
	ds_write_b64 v14, v[72:73] offset:32
	ds_write2_b64 v44, v[58:59], v[60:61] offset1:1
	ds_write2_b64 v44, v[66:67], v[74:75] offset0:2 offset1:3
	ds_write_b64 v44, v[88:89] offset:32
	;; [unrolled: 3-line block ×3, first 2 shown]
	v_mul_lo_u16_e32 v14, 0x67, v0
	v_lshrrev_b16_e32 v14, 10, v14
	v_mul_lo_u16_e32 v51, 10, v14
	v_sub_u16_e32 v51, v0, v51
	v_mov_b32_e32 v60, 5
	v_mul_u32_u24_sdwa v53, v51, v60 dst_sel:DWORD dst_unused:UNUSED_PAD src0_sel:BYTE_0 src1_sel:DWORD
	v_lshlrev_b32_e32 v89, 3, v53
	s_waitcnt lgkmcnt(0)
	s_barrier
	global_load_dwordx4 v[65:68], v89, s[8:9]
	global_load_dwordx4 v[69:72], v89, s[8:9] offset:16
	s_mov_b32 s0, 0xcccd
	v_mul_u32_u24_sdwa v53, v17, s0 dst_sel:DWORD dst_unused:UNUSED_PAD src0_sel:WORD_0 src1_sel:DWORD
	v_lshrrev_b32_e32 v53, 19, v53
	v_mul_lo_u16_e32 v54, 10, v53
	v_sub_u16_e32 v54, v17, v54
	v_mul_u32_u24_e32 v56, 5, v54
	v_lshlrev_b32_e32 v99, 3, v56
	v_mul_u32_u24_sdwa v56, v26, s0 dst_sel:DWORD dst_unused:UNUSED_PAD src0_sel:WORD_0 src1_sel:DWORD
	v_lshrrev_b32_e32 v56, 19, v56
	v_mul_lo_u16_e32 v57, 10, v56
	v_sub_u16_e32 v57, v26, v57
	v_mul_u32_u24_e32 v58, 5, v57
	s_movk_i32 s1, 0xcd
	v_lshlrev_b32_e32 v124, 3, v58
	v_mul_lo_u16_sdwa v58, v15, s1 dst_sel:DWORD dst_unused:UNUSED_PAD src0_sel:BYTE_0 src1_sel:DWORD
	v_lshrrev_b16_e32 v58, 11, v58
	v_mul_lo_u16_e32 v59, 10, v58
	global_load_dwordx4 v[73:76], v99, s[8:9]
	v_sub_u16_e32 v59, v15, v59
	v_mul_u32_u24_sdwa v60, v59, v60 dst_sel:DWORD dst_unused:UNUSED_PAD src0_sel:BYTE_0 src1_sel:DWORD
	v_lshlrev_b32_e32 v63, 3, v60
	global_load_dwordx4 v[81:84], v63, s[8:9]
	v_mul_u32_u24_sdwa v60, v22, s0 dst_sel:DWORD dst_unused:UNUSED_PAD src0_sel:WORD_0 src1_sel:DWORD
	v_lshrrev_b32_e32 v60, 19, v60
	global_load_dwordx4 v[77:80], v124, s[8:9]
	v_mul_lo_u16_e32 v61, 10, v60
	v_sub_u16_e32 v61, v22, v61
	v_mul_u32_u24_e32 v64, 5, v61
	v_lshlrev_b32_e32 v125, 3, v64
	global_load_dwordx4 v[85:88], v125, s[8:9]
	global_load_dwordx4 v[91:94], v63, s[8:9] offset:16
	global_load_dwordx2 v[111:112], v63, s[8:9] offset:32
	ds_read2st64_b32 v[113:114], v45 offset0:28 offset1:30
	ds_read2st64_b32 v[115:116], v45 offset0:40 offset1:42
	global_load_dwordx4 v[95:98], v99, s[8:9] offset:16
	ds_read2st64_b32 v[117:118], v45 offset0:14 offset1:16
	ds_read2st64_b32 v[119:120], v45 offset0:24 offset1:26
	ds_read_b32 v126, v47
	ds_read_b32 v127, v50
	;; [unrolled: 1-line block ×4, first 2 shown]
	global_load_dwordx2 v[121:122], v99, s[8:9] offset:32
	ds_read_b32 v128, v9
	ds_read_b32 v129, v5
	v_mul_u32_u24_e32 v14, 0xf0, v14
	s_movk_i32 s0, 0x89
	s_movk_i32 s5, 0x1e0
	;; [unrolled: 1-line block ×3, first 2 shown]
	s_waitcnt vmcnt(9) lgkmcnt(5)
	v_mul_f32_e32 v130, v126, v66
	v_fmac_f32_e32 v130, v101, v65
	v_mul_f32_e32 v66, v101, v66
	global_load_dwordx4 v[99:102], v124, s[8:9] offset:16
	v_fma_f32 v126, v126, v65, -v66
	v_mul_f32_e32 v65, v123, v68
	s_waitcnt lgkmcnt(4)
	v_mul_f32_e32 v131, v127, v68
	v_fma_f32 v127, v127, v67, -v65
	s_waitcnt vmcnt(9)
	v_mul_f32_e32 v132, v114, v70
	v_mul_f32_e32 v65, v104, v70
	v_fmac_f32_e32 v132, v104, v69
	v_fma_f32 v104, v114, v69, -v65
	global_load_dwordx2 v[69:70], v89, s[8:9] offset:32
	v_fmac_f32_e32 v131, v123, v67
	global_load_dwordx2 v[123:124], v124, s[8:9] offset:32
	v_mul_f32_e32 v89, v115, v72
	global_load_dwordx4 v[65:68], v125, s[8:9] offset:16
	v_fmac_f32_e32 v89, v42, v71
	v_mul_f32_e32 v42, v42, v72
	v_fma_f32 v114, v115, v71, -v42
	global_load_dwordx2 v[71:72], v125, s[8:9] offset:32
	s_waitcnt vmcnt(12)
	v_mul_f32_e32 v115, v117, v74
	v_mul_f32_e32 v42, v107, v74
	v_fmac_f32_e32 v115, v107, v73
	v_fma_f32 v107, v117, v73, -v42
	v_mul_f32_e32 v117, v119, v76
	v_mul_f32_e32 v42, v109, v76
	ds_read2st64_b32 v[73:74], v45 offset0:18 offset1:22
	v_fmac_f32_e32 v117, v109, v75
	v_fma_f32 v109, v119, v75, -v42
	ds_read2st64_b32 v[75:76], v45 offset1:12
	s_waitcnt vmcnt(10)
	v_mul_f32_e32 v119, v118, v78
	v_mul_f32_e32 v42, v108, v78
	v_fmac_f32_e32 v119, v108, v77
	v_fma_f32 v78, v118, v77, -v42
	v_mul_f32_e32 v108, v120, v80
	v_mul_f32_e32 v42, v110, v80
	v_fmac_f32_e32 v108, v110, v79
	v_fma_f32 v79, v120, v79, -v42
	s_waitcnt lgkmcnt(1)
	v_mul_f32_e32 v80, v74, v84
	v_mul_f32_e32 v42, v106, v84
	s_waitcnt vmcnt(9)
	v_mul_f32_e32 v84, v73, v86
	v_mul_f32_e32 v77, v105, v86
	;; [unrolled: 1-line block ×4, first 2 shown]
	v_fmac_f32_e32 v86, v103, v87
	v_fma_f32 v87, v113, v87, -v88
	s_waitcnt lgkmcnt(0)
	v_mul_f32_e32 v88, v76, v82
	v_fmac_f32_e32 v80, v106, v83
	v_fmac_f32_e32 v84, v105, v85
	v_fma_f32 v85, v73, v85, -v77
	v_fma_f32 v83, v74, v83, -v42
	v_fmac_f32_e32 v88, v29, v81
	v_mul_f32_e32 v29, v29, v82
	ds_read2st64_b32 v[73:74], v45 offset0:32 offset1:34
	v_fma_f32 v29, v76, v81, -v29
	s_waitcnt vmcnt(8)
	v_mul_f32_e32 v81, v116, v94
	v_mul_f32_e32 v42, v43, v94
	v_fmac_f32_e32 v81, v43, v93
	v_fma_f32 v82, v116, v93, -v42
	ds_read2st64_b32 v[42:43], v45 offset0:52 offset1:54
	ds_read2st64_b32 v[76:77], v45 offset0:44 offset1:46
	s_waitcnt lgkmcnt(2)
	v_mul_f32_e32 v93, v73, v92
	v_fmac_f32_e32 v93, v40, v91
	v_mul_f32_e32 v40, v40, v92
	v_fma_f32 v73, v73, v91, -v40
	s_waitcnt vmcnt(7) lgkmcnt(1)
	v_mul_f32_e32 v91, v42, v112
	v_fmac_f32_e32 v91, v38, v111
	v_mul_f32_e32 v38, v38, v112
	v_fma_f32 v42, v42, v111, -v38
	s_waitcnt vmcnt(6)
	v_mul_f32_e32 v92, v74, v96
	v_mul_f32_e32 v38, v41, v96
	s_waitcnt lgkmcnt(0)
	v_mul_f32_e32 v94, v76, v98
	v_fmac_f32_e32 v92, v41, v95
	v_fma_f32 v74, v74, v95, -v38
	v_fmac_f32_e32 v94, v36, v97
	v_mul_f32_e32 v36, v36, v98
	s_waitcnt vmcnt(5)
	v_mul_f32_e32 v95, v43, v122
	v_fma_f32 v76, v76, v97, -v36
	v_fmac_f32_e32 v95, v39, v121
	v_mul_f32_e32 v36, v39, v122
	ds_read2st64_b32 v[38:39], v45 offset0:36 offset1:38
	v_fma_f32 v43, v43, v121, -v36
	s_waitcnt vmcnt(4)
	v_mul_f32_e32 v96, v77, v102
	v_fmac_f32_e32 v96, v37, v101
	v_mul_f32_e32 v40, v37, v102
	ds_read2st64_b32 v[36:37], v45 offset0:48 offset1:50
	v_fma_f32 v77, v77, v101, -v40
	ds_read2st64_b32 v[40:41], v45 offset0:56 offset1:58
	s_waitcnt lgkmcnt(2)
	v_mul_f32_e32 v97, v38, v100
	v_fmac_f32_e32 v97, v34, v99
	v_mul_f32_e32 v34, v34, v100
	v_fma_f32 v34, v38, v99, -v34
	s_waitcnt vmcnt(3) lgkmcnt(1)
	v_mul_f32_e32 v38, v37, v70
	v_fmac_f32_e32 v38, v33, v69
	v_mul_f32_e32 v33, v33, v70
	v_fma_f32 v33, v37, v69, -v33
	s_waitcnt vmcnt(2) lgkmcnt(0)
	v_mul_f32_e32 v37, v40, v124
	v_fmac_f32_e32 v37, v30, v123
	v_mul_f32_e32 v30, v30, v124
	v_fma_f32 v30, v40, v123, -v30
	s_waitcnt vmcnt(1)
	v_mul_f32_e32 v40, v39, v66
	v_fmac_f32_e32 v40, v35, v65
	v_mul_f32_e32 v35, v35, v66
	v_fma_f32 v35, v39, v65, -v35
	v_mul_f32_e32 v39, v36, v68
	v_fmac_f32_e32 v39, v32, v67
	v_mul_f32_e32 v32, v32, v68
	v_fma_f32 v32, v36, v67, -v32
	s_waitcnt vmcnt(0)
	v_mul_f32_e32 v36, v41, v72
	v_fmac_f32_e32 v36, v31, v71
	v_mul_f32_e32 v31, v31, v72
	v_add_f32_e32 v65, v131, v89
	v_fma_f32 v31, v41, v71, -v31
	v_add_f32_e32 v41, v28, v131
	v_fmac_f32_e32 v28, -0.5, v65
	v_sub_f32_e32 v65, v127, v114
	v_mov_b32_e32 v66, v28
	v_add_f32_e32 v67, v127, v114
	v_fmac_f32_e32 v66, 0xbf5db3d7, v65
	v_fmac_f32_e32 v28, 0x3f5db3d7, v65
	v_add_f32_e32 v65, v75, v127
	v_fmac_f32_e32 v75, -0.5, v67
	v_sub_f32_e32 v67, v131, v89
	v_mov_b32_e32 v68, v75
	v_add_f32_e32 v69, v132, v38
	v_fmac_f32_e32 v68, 0x3f5db3d7, v67
	v_fmac_f32_e32 v75, 0xbf5db3d7, v67
	v_add_f32_e32 v67, v130, v132
	v_fmac_f32_e32 v130, -0.5, v69
	v_sub_f32_e32 v69, v104, v33
	v_mov_b32_e32 v70, v130
	v_fmac_f32_e32 v70, 0xbf5db3d7, v69
	v_fmac_f32_e32 v130, 0x3f5db3d7, v69
	v_add_f32_e32 v69, v126, v104
	v_add_f32_e32 v69, v69, v33
	;; [unrolled: 1-line block ×3, first 2 shown]
	v_fmac_f32_e32 v126, -0.5, v33
	v_sub_f32_e32 v33, v132, v38
	v_add_f32_e32 v67, v67, v38
	v_mov_b32_e32 v38, v126
	v_fmac_f32_e32 v126, 0xbf5db3d7, v33
	v_add_f32_e32 v41, v41, v89
	v_fmac_f32_e32 v38, 0x3f5db3d7, v33
	v_mul_f32_e32 v89, 0xbf5db3d7, v126
	v_add_f32_e32 v65, v65, v114
	v_add_f32_e32 v33, v41, v67
	v_mul_f32_e32 v71, 0xbf5db3d7, v38
	v_fmac_f32_e32 v89, -0.5, v130
	v_mul_f32_e32 v38, 0.5, v38
	v_sub_f32_e32 v41, v41, v67
	v_add_f32_e32 v67, v80, v81
	v_add_f32_e32 v98, v28, v89
	;; [unrolled: 1-line block ×3, first 2 shown]
	v_fmac_f32_e32 v38, 0x3f5db3d7, v70
	v_sub_f32_e32 v28, v28, v89
	v_sub_f32_e32 v89, v65, v69
	v_add_f32_e32 v65, v62, v80
	v_fmac_f32_e32 v62, -0.5, v67
	v_fmac_f32_e32 v71, 0.5, v70
	v_add_f32_e32 v100, v68, v38
	v_mul_f32_e32 v70, -0.5, v126
	v_sub_f32_e32 v38, v68, v38
	v_sub_f32_e32 v67, v83, v82
	v_mov_b32_e32 v68, v62
	v_add_f32_e32 v69, v83, v82
	v_fmac_f32_e32 v70, 0x3f5db3d7, v130
	v_fmac_f32_e32 v68, 0xbf5db3d7, v67
	v_fmac_f32_e32 v62, 0x3f5db3d7, v67
	v_add_f32_e32 v67, v129, v83
	v_fmac_f32_e32 v129, -0.5, v69
	v_add_f32_e32 v72, v66, v71
	v_add_f32_e32 v101, v75, v70
	v_sub_f32_e32 v66, v66, v71
	v_sub_f32_e32 v102, v75, v70
	;; [unrolled: 1-line block ×3, first 2 shown]
	v_mov_b32_e32 v70, v129
	v_add_f32_e32 v71, v93, v91
	v_fmac_f32_e32 v70, 0x3f5db3d7, v69
	v_fmac_f32_e32 v129, 0xbf5db3d7, v69
	v_add_f32_e32 v69, v88, v93
	v_fmac_f32_e32 v88, -0.5, v71
	v_sub_f32_e32 v71, v73, v42
	v_mov_b32_e32 v75, v88
	v_fmac_f32_e32 v75, 0xbf5db3d7, v71
	v_fmac_f32_e32 v88, 0x3f5db3d7, v71
	v_add_f32_e32 v71, v29, v73
	v_add_f32_e32 v71, v71, v42
	;; [unrolled: 1-line block ×3, first 2 shown]
	v_fmac_f32_e32 v29, -0.5, v42
	v_sub_f32_e32 v42, v93, v91
	v_mov_b32_e32 v73, v29
	v_add_f32_e32 v65, v65, v81
	v_add_f32_e32 v69, v69, v91
	v_fmac_f32_e32 v73, 0x3f5db3d7, v42
	v_add_f32_e32 v67, v67, v82
	v_fmac_f32_e32 v29, 0xbf5db3d7, v42
	v_add_f32_e32 v42, v65, v69
	v_mul_f32_e32 v80, 0xbf5db3d7, v73
	v_mul_f32_e32 v73, 0.5, v73
	v_sub_f32_e32 v65, v65, v69
	v_add_f32_e32 v69, v117, v94
	v_add_f32_e32 v91, v67, v71
	v_fmac_f32_e32 v73, 0x3f5db3d7, v75
	v_sub_f32_e32 v103, v67, v71
	v_add_f32_e32 v67, v55, v117
	v_fmac_f32_e32 v55, -0.5, v69
	v_add_f32_e32 v93, v70, v73
	v_sub_f32_e32 v104, v70, v73
	v_sub_f32_e32 v69, v109, v76
	v_mov_b32_e32 v70, v55
	v_add_f32_e32 v71, v109, v76
	v_fmac_f32_e32 v70, 0xbf5db3d7, v69
	v_fmac_f32_e32 v55, 0x3f5db3d7, v69
	v_add_f32_e32 v69, v128, v109
	v_fmac_f32_e32 v128, -0.5, v71
	v_fmac_f32_e32 v80, 0.5, v75
	v_sub_f32_e32 v71, v117, v94
	v_mov_b32_e32 v73, v128
	v_add_f32_e32 v75, v92, v95
	v_fmac_f32_e32 v73, 0x3f5db3d7, v71
	v_fmac_f32_e32 v128, 0xbf5db3d7, v71
	v_add_f32_e32 v71, v115, v92
	v_fmac_f32_e32 v115, -0.5, v75
	v_add_f32_e32 v69, v69, v76
	v_sub_f32_e32 v75, v74, v43
	v_mov_b32_e32 v76, v115
	v_fmac_f32_e32 v76, 0xbf5db3d7, v75
	v_fmac_f32_e32 v115, 0x3f5db3d7, v75
	v_add_f32_e32 v75, v107, v74
	v_add_f32_e32 v75, v75, v43
	;; [unrolled: 1-line block ×3, first 2 shown]
	v_fmac_f32_e32 v107, -0.5, v43
	v_sub_f32_e32 v43, v92, v95
	v_mov_b32_e32 v74, v107
	v_fmac_f32_e32 v107, 0xbf5db3d7, v43
	v_add_f32_e32 v67, v67, v94
	v_add_f32_e32 v71, v71, v95
	v_fmac_f32_e32 v74, 0x3f5db3d7, v43
	v_mul_f32_e32 v92, 0xbf5db3d7, v107
	v_add_f32_e32 v81, v68, v80
	v_sub_f32_e32 v68, v68, v80
	v_add_f32_e32 v43, v67, v71
	v_mul_f32_e32 v80, 0xbf5db3d7, v74
	v_fmac_f32_e32 v92, -0.5, v115
	v_mul_f32_e32 v74, 0.5, v74
	v_sub_f32_e32 v67, v67, v71
	v_add_f32_e32 v71, v108, v96
	v_add_f32_e32 v94, v55, v92
	v_add_f32_e32 v95, v69, v75
	v_fmac_f32_e32 v74, 0x3f5db3d7, v76
	v_sub_f32_e32 v55, v55, v92
	v_sub_f32_e32 v92, v69, v75
	v_add_f32_e32 v69, v52, v108
	v_fmac_f32_e32 v52, -0.5, v71
	v_fmac_f32_e32 v80, 0.5, v76
	v_add_f32_e32 v105, v73, v74
	v_mul_f32_e32 v76, -0.5, v107
	v_sub_f32_e32 v107, v73, v74
	v_sub_f32_e32 v71, v79, v77
	v_mov_b32_e32 v73, v52
	v_add_f32_e32 v74, v79, v77
	v_fmac_f32_e32 v76, 0x3f5db3d7, v115
	v_fmac_f32_e32 v73, 0xbf5db3d7, v71
	;; [unrolled: 1-line block ×3, first 2 shown]
	v_add_f32_e32 v71, v64, v79
	v_fmac_f32_e32 v64, -0.5, v74
	v_add_f32_e32 v106, v128, v76
	v_sub_f32_e32 v109, v128, v76
	v_sub_f32_e32 v74, v108, v96
	v_mov_b32_e32 v75, v64
	v_add_f32_e32 v76, v97, v37
	v_fmac_f32_e32 v75, 0x3f5db3d7, v74
	v_fmac_f32_e32 v64, 0xbf5db3d7, v74
	v_add_f32_e32 v74, v119, v97
	v_fmac_f32_e32 v119, -0.5, v76
	v_add_f32_e32 v71, v71, v77
	v_sub_f32_e32 v76, v34, v30
	v_mov_b32_e32 v77, v119
	v_fmac_f32_e32 v77, 0xbf5db3d7, v76
	v_fmac_f32_e32 v119, 0x3f5db3d7, v76
	v_add_f32_e32 v76, v78, v34
	v_add_f32_e32 v76, v76, v30
	;; [unrolled: 1-line block ×3, first 2 shown]
	v_fmac_f32_e32 v78, -0.5, v30
	v_sub_f32_e32 v30, v97, v37
	v_mov_b32_e32 v34, v78
	v_fmac_f32_e32 v34, 0x3f5db3d7, v30
	v_add_f32_e32 v74, v74, v37
	v_fmac_f32_e32 v78, 0xbf5db3d7, v30
	v_mul_f32_e32 v37, 0xbf5db3d7, v34
	v_mul_f32_e32 v34, 0.5, v34
	v_fmac_f32_e32 v37, 0.5, v77
	v_fmac_f32_e32 v34, 0x3f5db3d7, v77
	v_mul_f32_e32 v77, -0.5, v78
	v_fmac_f32_e32 v77, 0x3f5db3d7, v119
	v_add_f32_e32 v110, v64, v77
	v_sub_f32_e32 v113, v64, v77
	v_add_f32_e32 v64, v86, v39
	v_add_f32_e32 v108, v75, v34
	v_sub_f32_e32 v112, v75, v34
	v_add_f32_e32 v34, v12, v86
	v_fmac_f32_e32 v12, -0.5, v64
	v_add_f32_e32 v97, v71, v76
	v_sub_f32_e32 v111, v71, v76
	v_sub_f32_e32 v64, v87, v32
	v_mov_b32_e32 v71, v12
	v_fmac_f32_e32 v71, 0xbf5db3d7, v64
	v_fmac_f32_e32 v12, 0x3f5db3d7, v64
	v_add_f32_e32 v64, v63, v87
	v_add_f32_e32 v64, v64, v32
	;; [unrolled: 1-line block ×3, first 2 shown]
	v_fmac_f32_e32 v63, -0.5, v32
	v_add_f32_e32 v79, v73, v37
	v_sub_f32_e32 v37, v73, v37
	v_add_f32_e32 v34, v34, v39
	v_sub_f32_e32 v32, v86, v39
	v_mov_b32_e32 v39, v63
	v_add_f32_e32 v73, v40, v36
	v_add_f32_e32 v69, v69, v96
	v_fmac_f32_e32 v39, 0x3f5db3d7, v32
	v_fmac_f32_e32 v63, 0xbf5db3d7, v32
	v_add_f32_e32 v32, v84, v40
	v_fmac_f32_e32 v84, -0.5, v73
	v_add_f32_e32 v30, v69, v74
	v_sub_f32_e32 v69, v69, v74
	v_sub_f32_e32 v73, v35, v31
	v_mov_b32_e32 v74, v84
	v_fmac_f32_e32 v74, 0xbf5db3d7, v73
	v_fmac_f32_e32 v84, 0x3f5db3d7, v73
	v_add_f32_e32 v73, v85, v35
	v_add_f32_e32 v73, v73, v31
	;; [unrolled: 1-line block ×3, first 2 shown]
	v_fmac_f32_e32 v85, -0.5, v31
	v_add_f32_e32 v32, v32, v36
	v_sub_f32_e32 v31, v40, v36
	v_mov_b32_e32 v35, v85
	v_fmac_f32_e32 v35, 0x3f5db3d7, v31
	v_fmac_f32_e32 v85, 0xbf5db3d7, v31
	v_add_f32_e32 v31, v34, v32
	v_sub_f32_e32 v32, v34, v32
	v_mov_b32_e32 v34, 2
	v_lshlrev_b32_sdwa v51, v34, v51 dst_sel:DWORD dst_unused:UNUSED_PAD src0_sel:DWORD src1_sel:BYTE_0
	v_add3_u32 v14, 0, v14, v51
	v_mul_f32_e32 v82, 0xbf5db3d7, v29
	s_barrier
	ds_write2_b32 v14, v33, v72 offset1:10
	ds_write2_b32 v14, v98, v41 offset0:20 offset1:30
	ds_write2_b32 v14, v66, v28 offset0:40 offset1:50
	v_mul_u32_u24_e32 v28, 0xf0, v58
	v_lshlrev_b32_sdwa v33, v34, v59 dst_sel:DWORD dst_unused:UNUSED_PAD src0_sel:DWORD src1_sel:BYTE_0
	v_fmac_f32_e32 v82, -0.5, v88
	v_add3_u32 v28, 0, v28, v33
	v_mul_u32_u24_e32 v33, 0xf0, v53
	v_lshlrev_b32_e32 v41, 2, v54
	v_add_f32_e32 v83, v62, v82
	v_sub_f32_e32 v62, v62, v82
	v_add_f32_e32 v82, v70, v80
	v_sub_f32_e32 v70, v70, v80
	v_mul_f32_e32 v80, 0xbf5db3d7, v78
	ds_write2_b32 v28, v42, v81 offset1:10
	ds_write2_b32 v28, v83, v65 offset0:20 offset1:30
	ds_write2_b32 v28, v68, v62 offset0:40 offset1:50
	v_add3_u32 v41, 0, v33, v41
	v_mul_u32_u24_e32 v33, 0xf0, v56
	v_lshlrev_b32_e32 v42, 2, v57
	v_mul_f32_e32 v29, -0.5, v29
	v_fmac_f32_e32 v80, -0.5, v119
	v_mul_f32_e32 v36, 0xbf5db3d7, v35
	v_mul_f32_e32 v75, 0xbf5db3d7, v85
	v_mul_f32_e32 v35, 0.5, v35
	v_add3_u32 v42, 0, v33, v42
	v_fmac_f32_e32 v29, 0x3f5db3d7, v88
	v_add_f32_e32 v96, v52, v80
	v_sub_f32_e32 v52, v52, v80
	v_fmac_f32_e32 v36, 0.5, v74
	v_fmac_f32_e32 v75, -0.5, v84
	v_fmac_f32_e32 v35, 0x3f5db3d7, v74
	v_mul_f32_e32 v74, -0.5, v85
	ds_write2_b32 v41, v43, v82 offset1:10
	ds_write2_b32 v41, v94, v67 offset0:20 offset1:30
	ds_write2_b32 v41, v70, v55 offset0:40 offset1:50
	ds_write2_b32 v42, v30, v79 offset1:10
	ds_write2_b32 v42, v96, v69 offset0:20 offset1:30
	ds_write2_b32 v42, v37, v52 offset0:40 offset1:50
	v_mul_u32_u24_e32 v30, 0xf0, v60
	v_lshlrev_b32_e32 v33, 2, v61
	v_add_f32_e32 v88, v129, v29
	v_sub_f32_e32 v29, v129, v29
	v_add_f32_e32 v40, v71, v36
	v_add_f32_e32 v76, v12, v75
	v_fmac_f32_e32 v74, 0x3f5db3d7, v84
	v_add3_u32 v37, 0, v30, v33
	v_lshl_add_u32 v51, v20, 2, 0
	v_lshl_add_u32 v55, v13, 2, 0
	v_add_f32_e32 v87, v64, v73
	v_add_f32_e32 v114, v39, v35
	;; [unrolled: 1-line block ×3, first 2 shown]
	v_sub_f32_e32 v36, v71, v36
	v_sub_f32_e32 v12, v12, v75
	;; [unrolled: 1-line block ×5, first 2 shown]
	ds_write2_b32 v37, v31, v40 offset1:10
	ds_write2_b32 v37, v76, v32 offset0:20 offset1:30
	ds_write2_b32 v37, v36, v12 offset0:40 offset1:50
	s_waitcnt lgkmcnt(0)
	s_barrier
	ds_read2st64_b32 v[71:72], v45 offset1:30
	ds_read2st64_b32 v[73:74], v45 offset0:32 offset1:34
	ds_read2st64_b32 v[75:76], v45 offset0:36 offset1:38
	ds_read_b32 v64, v47
	ds_read2st64_b32 v[77:78], v45 offset0:40 offset1:42
	v_lshl_add_u32 v52, v6, 2, 0
	ds_read2st64_b32 v[79:80], v45 offset0:44 offset1:46
	v_lshl_add_u32 v53, v10, 2, 0
	v_lshl_add_u32 v54, v4, 2, 0
	ds_read_b32 v66, v51
	ds_read_b32 v65, v52
	;; [unrolled: 1-line block ×4, first 2 shown]
	ds_read2st64_b32 v[81:82], v45 offset0:48 offset1:50
	ds_read_b32 v67, v49
	ds_read_b32 v68, v48
	;; [unrolled: 1-line block ×3, first 2 shown]
	ds_read2st64_b32 v[83:84], v45 offset0:52 offset1:54
	v_lshl_add_u32 v56, v8, 2, 0
	v_lshl_add_u32 v57, v11, 2, 0
	ds_read_b32 v59, v55
	ds_read_b32 v33, v56
	;; [unrolled: 1-line block ×3, first 2 shown]
	ds_read2st64_b32 v[85:86], v45 offset0:56 offset1:58
	v_lshl_add_u32 v58, v19, 2, 0
	ds_read_b32 v69, v9
	ds_read_b32 v70, v5
	ds_read_b32 v63, v58
	s_waitcnt lgkmcnt(0)
	s_barrier
	ds_write2_b32 v14, v99, v100 offset1:10
	ds_write2_b32 v14, v101, v89 offset0:20 offset1:30
	ds_write2_b32 v14, v38, v102 offset0:40 offset1:50
	ds_write2_b32 v28, v91, v93 offset1:10
	ds_write2_b32 v28, v88, v103 offset0:20 offset1:30
	ds_write2_b32 v28, v104, v29 offset0:40 offset1:50
	;; [unrolled: 3-line block ×5, first 2 shown]
	v_mul_lo_u16_sdwa v29, v15, s0 dst_sel:DWORD dst_unused:UNUSED_PAD src0_sel:BYTE_0 src1_sel:DWORD
	s_mov_b32 s0, 0x8889
	v_mul_u32_u24_sdwa v36, v26, s0 dst_sel:DWORD dst_unused:UNUSED_PAD src0_sel:WORD_0 src1_sel:DWORD
	v_lshrrev_b16_e32 v89, 13, v29
	v_mul_u32_u24_sdwa v35, v17, s0 dst_sel:DWORD dst_unused:UNUSED_PAD src0_sel:WORD_0 src1_sel:DWORD
	v_lshrrev_b32_e32 v128, 21, v36
	v_mul_lo_u16_e32 v12, 60, v89
	v_lshrrev_b32_e32 v126, 21, v35
	v_mul_lo_u16_e32 v37, 60, v128
	v_mov_b32_e32 v28, 3
	v_sub_u16_e32 v125, v15, v12
	v_mul_lo_u16_e32 v14, 60, v126
	v_sub_u16_e32 v129, v26, v37
	v_mul_u32_u24_sdwa v60, v22, s0 dst_sel:DWORD dst_unused:UNUSED_PAD src0_sel:WORD_0 src1_sel:DWORD
	v_lshlrev_b32_sdwa v12, v28, v125 dst_sel:DWORD dst_unused:UNUSED_PAD src0_sel:DWORD src1_sel:BYTE_0
	v_sub_u16_e32 v127, v17, v14
	v_lshlrev_b32_e32 v37, 3, v129
	v_lshrrev_b32_e32 v130, 21, v60
	v_mul_u32_u24_sdwa v61, v24, s0 dst_sel:DWORD dst_unused:UNUSED_PAD src0_sel:WORD_0 src1_sel:DWORD
	s_waitcnt lgkmcnt(0)
	s_barrier
	v_lshlrev_b32_e32 v14, 3, v127
	global_load_dwordx2 v[87:88], v12, s[8:9] offset:400
	global_load_dwordx2 v[91:92], v14, s[8:9] offset:400
	;; [unrolled: 1-line block ×3, first 2 shown]
	v_mul_lo_u16_e32 v12, 60, v130
	v_lshrrev_b32_e32 v132, 21, v61
	v_mul_u32_u24_sdwa v37, v20, s0 dst_sel:DWORD dst_unused:UNUSED_PAD src0_sel:WORD_0 src1_sel:DWORD
	v_sub_u16_e32 v131, v22, v12
	v_mul_lo_u16_e32 v12, 60, v132
	v_lshrrev_b32_e32 v134, 21, v37
	v_sub_u16_e32 v133, v24, v12
	v_mul_lo_u16_e32 v12, 60, v134
	v_sub_u16_e32 v135, v20, v12
	v_mul_u32_u24_sdwa v12, v6, s0 dst_sel:DWORD dst_unused:UNUSED_PAD src0_sel:WORD_0 src1_sel:DWORD
	v_lshrrev_b32_e32 v136, 21, v12
	v_mul_lo_u16_e32 v40, 60, v136
	v_lshlrev_b32_e32 v14, 3, v131
	v_sub_u16_e32 v137, v6, v40
	v_mul_u32_u24_sdwa v41, v10, s0 dst_sel:DWORD dst_unused:UNUSED_PAD src0_sel:WORD_0 src1_sel:DWORD
	v_lshlrev_b32_e32 v38, 3, v133
	v_lshlrev_b32_e32 v39, 3, v135
	;; [unrolled: 1-line block ×3, first 2 shown]
	global_load_dwordx2 v[95:96], v14, s[8:9] offset:400
	global_load_dwordx2 v[97:98], v38, s[8:9] offset:400
	;; [unrolled: 1-line block ×4, first 2 shown]
	v_lshrrev_b32_e32 v138, 21, v41
	v_mul_u32_u24_sdwa v42, v4, s0 dst_sel:DWORD dst_unused:UNUSED_PAD src0_sel:WORD_0 src1_sel:DWORD
	v_mul_lo_u16_e32 v14, 60, v138
	v_lshrrev_b32_e32 v140, 21, v42
	v_mul_u32_u24_sdwa v43, v7, s0 dst_sel:DWORD dst_unused:UNUSED_PAD src0_sel:WORD_0 src1_sel:DWORD
	v_sub_u16_e32 v139, v10, v14
	v_mul_lo_u16_e32 v14, 60, v140
	v_lshrrev_b32_e32 v142, 21, v43
	v_lshlrev_b32_e32 v38, 3, v139
	v_sub_u16_e32 v141, v4, v14
	v_mul_lo_u16_e32 v14, 60, v142
	v_sub_u16_e32 v143, v7, v14
	v_mul_u32_u24_sdwa v14, v13, s0 dst_sel:DWORD dst_unused:UNUSED_PAD src0_sel:WORD_0 src1_sel:DWORD
	global_load_dwordx2 v[103:104], v38, s[8:9] offset:400
	v_lshlrev_b32_e32 v38, 3, v141
	v_lshrrev_b32_e32 v144, 21, v14
	global_load_dwordx2 v[105:106], v38, s[8:9] offset:400
	v_mul_lo_u16_e32 v39, 60, v144
	v_sub_u16_e32 v145, v13, v39
	v_mul_u32_u24_sdwa v40, v8, s0 dst_sel:DWORD dst_unused:UNUSED_PAD src0_sel:WORD_0 src1_sel:DWORD
	v_lshlrev_b32_e32 v39, 3, v143
	v_lshlrev_b32_e32 v38, 3, v145
	v_lshrrev_b32_e32 v146, 21, v40
	global_load_dwordx2 v[107:108], v39, s[8:9] offset:400
	global_load_dwordx2 v[109:110], v38, s[8:9] offset:400
	v_mul_lo_u16_e32 v38, 60, v146
	v_sub_u16_e32 v147, v8, v38
	v_mul_u32_u24_sdwa v38, v11, s0 dst_sel:DWORD dst_unused:UNUSED_PAD src0_sel:WORD_0 src1_sel:DWORD
	v_lshrrev_b32_e32 v148, 21, v38
	v_mul_lo_u16_e32 v39, 60, v148
	v_sub_u16_e32 v149, v11, v39
	v_lshlrev_b32_e32 v111, 3, v147
	global_load_dwordx2 v[111:112], v111, s[8:9] offset:400
	v_lshlrev_b32_e32 v113, 3, v149
	global_load_dwordx2 v[113:114], v113, s[8:9] offset:400
	v_mul_u32_u24_sdwa v39, v19, s0 dst_sel:DWORD dst_unused:UNUSED_PAD src0_sel:WORD_0 src1_sel:DWORD
	v_lshrrev_b32_e32 v150, 21, v39
	v_mul_lo_u16_e32 v117, 0x89, v0
	v_mul_lo_u16_e32 v115, 60, v150
	v_lshrrev_b16_e32 v152, 13, v117
	v_sub_u16_e32 v151, v19, v115
	v_mul_lo_u16_e32 v117, 60, v152
	v_lshlrev_b32_e32 v115, 3, v151
	global_load_dwordx2 v[115:116], v115, s[8:9] offset:400
	v_sub_u16_e32 v153, v0, v117
	v_lshlrev_b32_sdwa v117, v28, v153 dst_sel:DWORD dst_unused:UNUSED_PAD src0_sel:DWORD src1_sel:BYTE_0
	global_load_dwordx2 v[117:118], v117, s[8:9] offset:400
	ds_read2st64_b32 v[119:120], v45 offset0:32 offset1:34
	ds_read2st64_b32 v[121:122], v45 offset0:36 offset1:38
	;; [unrolled: 1-line block ×3, first 2 shown]
	v_lshrrev_b32_e32 v35, 22, v35
	s_movk_i32 s0, 0x78
	v_cmp_gt_u32_e64 s[0:1], s0, v0
	s_waitcnt vmcnt(14) lgkmcnt(2)
	v_mul_f32_e32 v154, v119, v88
	v_fmac_f32_e32 v154, v73, v87
	v_mul_f32_e32 v73, v73, v88
	v_fma_f32 v119, v119, v87, -v73
	s_waitcnt vmcnt(13)
	v_mul_f32_e32 v155, v120, v92
	v_mul_f32_e32 v73, v74, v92
	ds_read2st64_b32 v[87:88], v45 offset0:44 offset1:46
	v_fmac_f32_e32 v155, v74, v91
	v_fma_f32 v91, v120, v91, -v73
	s_waitcnt vmcnt(12) lgkmcnt(2)
	v_mul_f32_e32 v92, v121, v94
	v_mul_f32_e32 v73, v75, v94
	v_fmac_f32_e32 v92, v75, v93
	v_fma_f32 v93, v121, v93, -v73
	s_waitcnt vmcnt(11)
	v_mul_f32_e32 v94, v122, v96
	v_mul_f32_e32 v73, v76, v96
	v_fmac_f32_e32 v94, v76, v95
	v_fma_f32 v95, v122, v95, -v73
	s_waitcnt vmcnt(10) lgkmcnt(1)
	v_mul_f32_e32 v96, v123, v98
	v_mul_f32_e32 v73, v77, v98
	v_fmac_f32_e32 v96, v77, v97
	v_fma_f32 v97, v123, v97, -v73
	s_waitcnt vmcnt(9)
	v_mul_f32_e32 v73, v78, v100
	v_mul_f32_e32 v77, v124, v100
	v_fma_f32 v98, v124, v99, -v73
	s_waitcnt vmcnt(8)
	v_mul_f32_e32 v73, v79, v102
	v_fmac_f32_e32 v77, v78, v99
	s_waitcnt lgkmcnt(0)
	v_fma_f32 v99, v87, v101, -v73
	ds_read2st64_b32 v[73:74], v45 offset0:48 offset1:50
	v_mul_f32_e32 v78, v87, v102
	v_fmac_f32_e32 v78, v79, v101
	s_waitcnt vmcnt(7)
	v_mul_f32_e32 v75, v80, v104
	v_mul_f32_e32 v79, v88, v104
	v_fma_f32 v88, v88, v103, -v75
	s_waitcnt vmcnt(6)
	v_mul_f32_e32 v75, v81, v106
	s_waitcnt lgkmcnt(0)
	v_fma_f32 v100, v73, v105, -v75
	ds_read2st64_b32 v[75:76], v45 offset0:52 offset1:54
	v_fmac_f32_e32 v79, v80, v103
	v_mul_f32_e32 v80, v73, v106
	v_fmac_f32_e32 v80, v81, v105
	s_waitcnt vmcnt(5)
	v_mul_f32_e32 v73, v82, v108
	v_fma_f32 v101, v74, v107, -v73
	s_waitcnt vmcnt(4)
	v_mul_f32_e32 v73, v83, v110
	v_mul_f32_e32 v81, v74, v108
	s_waitcnt lgkmcnt(0)
	v_fma_f32 v102, v75, v109, -v73
	ds_read2st64_b32 v[73:74], v45 offset0:56 offset1:58
	v_fmac_f32_e32 v81, v82, v107
	v_mul_f32_e32 v82, v75, v110
	v_fmac_f32_e32 v82, v83, v109
	s_waitcnt vmcnt(3)
	v_mul_f32_e32 v75, v84, v112
	v_fma_f32 v103, v76, v111, -v75
	s_waitcnt vmcnt(2)
	v_mul_f32_e32 v75, v85, v114
	v_mul_f32_e32 v83, v76, v112
	s_waitcnt lgkmcnt(0)
	v_fma_f32 v104, v73, v113, -v75
	ds_read2st64_b32 v[75:76], v45 offset1:30
	v_fmac_f32_e32 v83, v84, v111
	v_mul_f32_e32 v84, v73, v114
	v_fmac_f32_e32 v84, v85, v113
	s_waitcnt vmcnt(1)
	v_mul_f32_e32 v85, v86, v116
	v_mul_f32_e32 v73, v74, v116
	v_fma_f32 v105, v74, v115, -v85
	s_waitcnt vmcnt(0) lgkmcnt(0)
	v_mul_f32_e32 v74, v76, v118
	v_fmac_f32_e32 v74, v72, v117
	v_mul_f32_e32 v72, v72, v118
	v_fma_f32 v72, v76, v117, -v72
	v_sub_f32_e32 v74, v71, v74
	v_mul_u32_u24_e32 v76, 0x1e0, v152
	v_lshlrev_b32_sdwa v85, v34, v153 dst_sel:DWORD dst_unused:UNUSED_PAD src0_sel:DWORD src1_sel:BYTE_0
	v_fma_f32 v71, v71, 2.0, -v74
	v_add3_u32 v106, 0, v76, v85
	v_fmac_f32_e32 v73, v86, v115
	ds_read_b32 v107, v47
	ds_read_b32 v108, v51
	;; [unrolled: 1-line block ×14, first 2 shown]
	s_waitcnt lgkmcnt(0)
	s_barrier
	ds_write2_b32 v106, v71, v74 offset1:60
	v_mul_u32_u24_e32 v71, 0x1e0, v89
	v_lshlrev_b32_sdwa v74, v34, v125 dst_sel:DWORD dst_unused:UNUSED_PAD src0_sel:DWORD src1_sel:BYTE_0
	v_add3_u32 v89, 0, v71, v74
	v_sub_f32_e32 v71, v70, v154
	v_fma_f32 v70, v70, 2.0, -v71
	ds_write2_b32 v89, v70, v71 offset1:60
	v_mul_u32_u24_e32 v70, 0x1e0, v126
	v_lshlrev_b32_e32 v71, 2, v127
	v_add3_u32 v122, 0, v70, v71
	v_sub_f32_e32 v70, v69, v155
	v_fma_f32 v69, v69, 2.0, -v70
	ds_write2_b32 v122, v69, v70 offset1:60
	v_mul_u32_u24_e32 v69, 0x1e0, v128
	v_lshlrev_b32_e32 v70, 2, v129
	;; [unrolled: 6-line block ×8, first 2 shown]
	v_add3_u32 v126, 0, v62, v64
	v_sub_f32_e32 v62, v31, v80
	v_fma_f32 v31, v31, 2.0, -v62
	ds_write2_b32 v126, v31, v62 offset1:60
	v_sub_f32_e32 v31, v30, v81
	v_mul_u32_u24_e32 v67, 0x1e0, v142
	v_lshlrev_b32_e32 v68, 2, v143
	v_fma_f32 v30, v30, 2.0, -v31
	v_add3_u32 v129, 0, v67, v68
	v_sub_f32_e32 v62, v59, v82
	ds_write2_b32 v129, v30, v31 offset1:60
	v_mul_u32_u24_e32 v30, 0x1e0, v144
	v_lshlrev_b32_e32 v31, 2, v145
	v_fma_f32 v59, v59, 2.0, -v62
	v_add3_u32 v130, 0, v30, v31
	v_mul_u32_u24_e32 v30, 0x1e0, v146
	v_lshlrev_b32_e32 v31, 2, v147
	ds_write2_b32 v130, v59, v62 offset1:60
	v_add3_u32 v59, 0, v30, v31
	v_mul_u32_u24_e32 v30, 0x1e0, v148
	v_lshlrev_b32_e32 v31, 2, v149
	v_sub_f32_e32 v127, v75, v72
	v_sub_f32_e32 v64, v33, v83
	;; [unrolled: 1-line block ×4, first 2 shown]
	v_add3_u32 v131, 0, v30, v31
	v_mul_u32_u24_e32 v30, 0x1e0, v150
	v_lshlrev_b32_e32 v31, 2, v151
	v_fma_f32 v128, v75, 2.0, -v127
	v_fma_f32 v33, v33, 2.0, -v64
	;; [unrolled: 1-line block ×4, first 2 shown]
	v_add3_u32 v132, 0, v30, v31
	ds_write2_b32 v59, v33, v64 offset1:60
	ds_write2_b32 v131, v32, v65 offset1:60
	;; [unrolled: 1-line block ×3, first 2 shown]
	s_waitcnt lgkmcnt(0)
	s_barrier
	ds_read2st64_b32 v[30:31], v45 offset1:30
	ds_read_b32 v71, v47
	ds_read_b32 v70, v51
	;; [unrolled: 1-line block ×14, first 2 shown]
	ds_read2st64_b32 v[76:77], v45 offset0:32 offset1:34
	ds_read2st64_b32 v[78:79], v45 offset0:36 offset1:38
	;; [unrolled: 1-line block ×7, first 2 shown]
	s_waitcnt lgkmcnt(0)
	s_barrier
	ds_write2_b32 v106, v128, v127 offset1:60
	v_sub_f32_e32 v106, v120, v119
	v_fma_f32 v119, v120, 2.0, -v106
	ds_write2_b32 v89, v119, v106 offset1:60
	v_sub_f32_e32 v89, v118, v91
	v_fma_f32 v91, v118, 2.0, -v89
	;; [unrolled: 3-line block ×4, first 2 shown]
	ds_write2_b32 v92, v91, v89 offset1:60
	v_sub_f32_e32 v89, v107, v97
	v_sub_f32_e32 v88, v110, v88
	v_sub_f32_e32 v105, v121, v105
	v_fma_f32 v91, v107, 2.0, -v89
	v_sub_f32_e32 v92, v108, v98
	v_sub_f32_e32 v95, v109, v99
	v_fma_f32 v98, v110, 2.0, -v88
	v_sub_f32_e32 v99, v111, v100
	v_sub_f32_e32 v101, v114, v101
	;; [unrolled: 1-line block ×5, first 2 shown]
	v_fma_f32 v110, v121, 2.0, -v105
	v_lshrrev_b16_e32 v121, 14, v29
	v_fma_f32 v93, v108, 2.0, -v92
	v_fma_f32 v97, v109, 2.0, -v95
	;; [unrolled: 1-line block ×7, first 2 shown]
	ds_write2_b32 v94, v91, v89 offset1:60
	ds_write2_b32 v96, v93, v92 offset1:60
	;; [unrolled: 1-line block ×10, first 2 shown]
	v_mul_lo_u16_e32 v29, 0x78, v121
	v_lshrrev_b32_e32 v124, 22, v36
	v_sub_u16_e32 v122, v15, v29
	v_mul_lo_u16_e32 v29, 0x78, v35
	v_mul_lo_u16_e32 v59, 0x78, v124
	v_lshlrev_b32_sdwa v28, v28, v122 dst_sel:DWORD dst_unused:UNUSED_PAD src0_sel:DWORD src1_sel:BYTE_0
	v_sub_u16_e32 v123, v17, v29
	v_sub_u16_e32 v125, v26, v59
	s_waitcnt lgkmcnt(0)
	s_barrier
	v_lshlrev_b32_e32 v29, 3, v123
	v_lshlrev_b32_e32 v59, 3, v125
	global_load_dwordx2 v[88:89], v28, s[8:9] offset:880
	global_load_dwordx2 v[91:92], v29, s[8:9] offset:880
	;; [unrolled: 1-line block ×3, first 2 shown]
	v_lshrrev_b32_e32 v126, 22, v60
	v_mul_lo_u16_e32 v28, 0x78, v126
	v_lshrrev_b32_e32 v128, 22, v61
	v_lshrrev_b32_e32 v130, 22, v37
	;; [unrolled: 1-line block ×3, first 2 shown]
	v_sub_u16_e32 v127, v22, v28
	v_mul_lo_u16_e32 v29, 0x78, v128
	v_mul_lo_u16_e32 v59, 0x78, v130
	;; [unrolled: 1-line block ×3, first 2 shown]
	v_lshlrev_b32_e32 v28, 3, v127
	v_sub_u16_e32 v129, v24, v29
	v_sub_u16_e32 v131, v20, v59
	;; [unrolled: 1-line block ×3, first 2 shown]
	v_lshlrev_b32_e32 v29, 3, v129
	v_lshlrev_b32_e32 v59, 3, v131
	;; [unrolled: 1-line block ×3, first 2 shown]
	global_load_dwordx2 v[95:96], v28, s[8:9] offset:880
	global_load_dwordx2 v[97:98], v29, s[8:9] offset:880
	;; [unrolled: 1-line block ×4, first 2 shown]
	v_lshrrev_b32_e32 v134, 22, v41
	v_mul_lo_u16_e32 v28, 0x78, v134
	v_sub_u16_e32 v135, v10, v28
	v_lshrrev_b32_e32 v136, 22, v42
	v_lshlrev_b32_e32 v28, 3, v135
	v_mul_lo_u16_e32 v29, 0x78, v136
	v_lshrrev_b32_e32 v138, 22, v43
	v_sub_u16_e32 v137, v4, v29
	v_mul_lo_u16_e32 v29, 0x78, v138
	v_lshrrev_b32_e32 v140, 22, v14
	global_load_dwordx2 v[103:104], v28, s[8:9] offset:880
	v_sub_u16_e32 v139, v7, v29
	v_mul_lo_u16_e32 v29, 0x78, v140
	v_sub_u16_e32 v141, v13, v29
	v_lshlrev_b32_e32 v29, 3, v137
	v_lshlrev_b32_e32 v59, 3, v139
	;; [unrolled: 1-line block ×3, first 2 shown]
	global_load_dwordx2 v[105:106], v29, s[8:9] offset:880
	global_load_dwordx2 v[107:108], v59, s[8:9] offset:880
	;; [unrolled: 1-line block ×3, first 2 shown]
	v_lshrrev_b32_e32 v142, 22, v40
	v_mul_lo_u16_e32 v28, 0x78, v142
	v_lshrrev_b32_e32 v144, 22, v38
	v_sub_u16_e32 v143, v8, v28
	v_mul_lo_u16_e32 v28, 0x78, v144
	v_lshrrev_b32_e32 v146, 22, v39
	v_sub_u16_e32 v145, v11, v28
	v_mul_lo_u16_e32 v28, 0x78, v146
	v_sub_u16_e32 v147, v19, v28
	v_lshlrev_b32_e32 v28, 3, v143
	v_lshlrev_b32_e32 v29, 3, v145
	;; [unrolled: 1-line block ×3, first 2 shown]
	global_load_dwordx2 v[111:112], v28, s[8:9] offset:880
	global_load_dwordx2 v[113:114], v29, s[8:9] offset:880
	;; [unrolled: 1-line block ×3, first 2 shown]
	v_add_u32_e32 v28, 0xffffff88, v0
	v_cndmask_b32_e64 v28, v28, v0, s[0:1]
	v_mov_b32_e32 v29, 0
	v_lshlrev_b64 v[117:118], 3, v[28:29]
	v_mov_b32_e32 v59, s9
	v_add_co_u32_e64 v117, s[0:1], s8, v117
	v_addc_co_u32_e64 v118, s[0:1], v59, v118, s[0:1]
	global_load_dwordx2 v[117:118], v[117:118], off offset:880
	ds_read2st64_b32 v[119:120], v45 offset0:32 offset1:34
	s_movk_i32 s0, 0x77
	v_cmp_lt_u32_e64 s[0:1], s0, v0
	v_lshlrev_b32_e32 v28, 2, v28
	v_lshrrev_b32_e32 v60, 23, v60
	v_mul_lo_u16_e32 v60, 0xf0, v60
	s_waitcnt vmcnt(14) lgkmcnt(0)
	v_mul_f32_e32 v148, v119, v89
	v_fmac_f32_e32 v148, v76, v88
	v_mul_f32_e32 v76, v76, v89
	v_fma_f32 v119, v119, v88, -v76
	ds_read2st64_b32 v[88:89], v45 offset0:36 offset1:38
	s_waitcnt vmcnt(13)
	v_mul_f32_e32 v149, v120, v92
	v_mul_f32_e32 v76, v77, v92
	v_fmac_f32_e32 v149, v77, v91
	v_fma_f32 v120, v120, v91, -v76
	ds_read2st64_b32 v[76:77], v45 offset0:40 offset1:42
	s_waitcnt vmcnt(12) lgkmcnt(1)
	v_mul_f32_e32 v150, v88, v94
	v_fmac_f32_e32 v150, v78, v93
	v_mul_f32_e32 v78, v78, v94
	ds_read2st64_b32 v[91:92], v45 offset0:44 offset1:46
	v_fma_f32 v93, v88, v93, -v78
	s_waitcnt vmcnt(11)
	v_mul_f32_e32 v78, v79, v96
	v_mul_f32_e32 v88, v89, v96
	v_fma_f32 v94, v89, v95, -v78
	s_waitcnt vmcnt(10)
	v_mul_f32_e32 v78, v80, v98
	v_fmac_f32_e32 v88, v79, v95
	s_waitcnt lgkmcnt(1)
	v_mul_f32_e32 v89, v76, v98
	v_fma_f32 v95, v76, v97, -v78
	s_waitcnt vmcnt(9)
	v_mul_f32_e32 v76, v81, v100
	v_fmac_f32_e32 v89, v80, v97
	v_mul_f32_e32 v80, v77, v100
	v_fma_f32 v96, v77, v99, -v76
	s_waitcnt vmcnt(8)
	v_mul_f32_e32 v76, v82, v102
	v_fmac_f32_e32 v80, v81, v99
	s_waitcnt lgkmcnt(0)
	v_mul_f32_e32 v81, v91, v102
	v_fma_f32 v91, v91, v101, -v76
	ds_read2st64_b32 v[76:77], v45 offset0:48 offset1:50
	s_waitcnt vmcnt(7)
	v_mul_f32_e32 v78, v83, v104
	v_fmac_f32_e32 v81, v82, v101
	v_mul_f32_e32 v82, v92, v104
	v_fma_f32 v92, v92, v103, -v78
	s_waitcnt vmcnt(6)
	v_mul_f32_e32 v78, v84, v106
	s_waitcnt lgkmcnt(0)
	v_fma_f32 v97, v76, v105, -v78
	ds_read2st64_b32 v[78:79], v45 offset0:52 offset1:54
	v_fmac_f32_e32 v82, v83, v103
	v_mul_f32_e32 v83, v76, v106
	s_waitcnt vmcnt(5)
	v_mul_f32_e32 v76, v85, v108
	v_fma_f32 v98, v77, v107, -v76
	s_waitcnt vmcnt(4)
	v_mul_f32_e32 v76, v86, v110
	v_fmac_f32_e32 v83, v84, v105
	v_mul_f32_e32 v84, v77, v108
	s_waitcnt lgkmcnt(0)
	v_fma_f32 v99, v78, v109, -v76
	ds_read2st64_b32 v[76:77], v45 offset0:56 offset1:58
	v_fmac_f32_e32 v84, v85, v107
	v_mul_f32_e32 v85, v78, v110
	s_waitcnt vmcnt(3)
	v_mul_f32_e32 v78, v87, v112
	v_fmac_f32_e32 v85, v86, v109
	v_mul_f32_e32 v86, v79, v112
	v_fma_f32 v100, v79, v111, -v78
	ds_read2st64_b32 v[78:79], v45 offset1:30
	v_fmac_f32_e32 v86, v87, v111
	s_waitcnt vmcnt(2) lgkmcnt(1)
	v_mul_f32_e32 v87, v76, v114
	v_fmac_f32_e32 v87, v32, v113
	v_mul_f32_e32 v32, v32, v114
	v_fma_f32 v32, v76, v113, -v32
	s_waitcnt vmcnt(1)
	v_mul_f32_e32 v76, v77, v116
	v_fmac_f32_e32 v76, v33, v115
	v_mul_f32_e32 v33, v33, v116
	v_fma_f32 v33, v77, v115, -v33
	s_waitcnt vmcnt(0) lgkmcnt(0)
	v_mul_f32_e32 v77, v79, v118
	v_fmac_f32_e32 v77, v31, v117
	v_mul_f32_e32 v31, v31, v118
	v_fma_f32 v31, v79, v117, -v31
	v_mov_b32_e32 v79, 0x3c0
	v_sub_f32_e32 v77, v30, v77
	v_cndmask_b32_e64 v79, 0, v79, s[0:1]
	v_fma_f32 v30, v30, 2.0, -v77
	v_add3_u32 v28, 0, v79, v28
	ds_read_b32 v101, v47
	ds_read_b32 v102, v51
	;; [unrolled: 1-line block ×14, first 2 shown]
	s_waitcnt lgkmcnt(0)
	s_barrier
	ds_write2_b32 v28, v30, v77 offset1:120
	v_lshlrev_b32_sdwa v30, v34, v122 dst_sel:DWORD dst_unused:UNUSED_PAD src0_sel:DWORD src1_sel:BYTE_0
	v_mul_u32_u24_e32 v34, 0x3c0, v121
	v_add3_u32 v30, 0, v34, v30
	v_sub_f32_e32 v34, v75, v148
	v_fma_f32 v75, v75, 2.0, -v34
	ds_write2_b32 v30, v75, v34 offset1:120
	v_mul_u32_u24_e32 v34, 0x3c0, v35
	v_lshlrev_b32_e32 v35, 2, v123
	v_add3_u32 v115, 0, v34, v35
	v_sub_f32_e32 v34, v74, v149
	v_fma_f32 v35, v74, 2.0, -v34
	ds_write2_b32 v115, v35, v34 offset1:120
	v_mul_u32_u24_e32 v34, 0x3c0, v124
	v_lshlrev_b32_e32 v35, 2, v125
	;; [unrolled: 6-line block ×8, first 2 shown]
	v_add3_u32 v124, 0, v34, v35
	v_sub_f32_e32 v34, v67, v83
	v_fma_f32 v35, v67, 2.0, -v34
	ds_write2_b32 v124, v35, v34 offset1:120
	v_sub_f32_e32 v34, v65, v84
	v_mul_u32_u24_e32 v70, 0x3c0, v138
	v_lshlrev_b32_e32 v71, 2, v139
	v_fma_f32 v35, v65, 2.0, -v34
	v_add3_u32 v126, 0, v70, v71
	ds_write2_b32 v126, v35, v34 offset1:120
	v_mul_u32_u24_e32 v34, 0x3c0, v140
	v_lshlrev_b32_e32 v35, 2, v141
	v_add3_u32 v127, 0, v34, v35
	v_mul_u32_u24_e32 v34, 0x3c0, v142
	v_lshlrev_b32_e32 v35, 2, v143
	v_add3_u32 v128, 0, v34, v35
	v_mul_u32_u24_e32 v34, 0x3c0, v144
	v_lshlrev_b32_e32 v35, 2, v145
	v_sub_f32_e32 v31, v78, v31
	v_sub_f32_e32 v65, v63, v85
	;; [unrolled: 1-line block ×5, first 2 shown]
	v_add3_u32 v129, 0, v34, v35
	v_mul_u32_u24_e32 v34, 0x3c0, v146
	v_lshlrev_b32_e32 v35, 2, v147
	v_fma_f32 v125, v78, 2.0, -v31
	v_fma_f32 v63, v63, 2.0, -v65
	;; [unrolled: 1-line block ×5, first 2 shown]
	v_add3_u32 v130, 0, v34, v35
	ds_write2_b32 v127, v63, v65 offset1:120
	ds_write2_b32 v128, v64, v67 offset1:120
	ds_write2_b32 v129, v62, v68 offset1:120
	ds_write2_b32 v130, v66, v69 offset1:120
	s_waitcnt lgkmcnt(0)
	s_barrier
	ds_read2st64_b32 v[34:35], v45 offset1:30
	ds_read_b32 v70, v47
	ds_read_b32 v71, v51
	;; [unrolled: 1-line block ×14, first 2 shown]
	ds_read2st64_b32 v[76:77], v45 offset0:32 offset1:34
	ds_read2st64_b32 v[78:79], v45 offset0:36 offset1:38
	;; [unrolled: 1-line block ×7, first 2 shown]
	s_waitcnt lgkmcnt(0)
	s_barrier
	ds_write2_b32 v28, v125, v31 offset1:120
	v_sub_f32_e32 v28, v113, v119
	v_fma_f32 v31, v113, 2.0, -v28
	ds_write2_b32 v30, v31, v28 offset1:120
	v_sub_f32_e32 v28, v112, v120
	v_fma_f32 v30, v112, 2.0, -v28
	;; [unrolled: 3-line block ×4, first 2 shown]
	ds_write2_b32 v117, v30, v28 offset1:120
	v_sub_f32_e32 v28, v101, v95
	s_movk_i32 s0, 0xf0
	v_fma_f32 v30, v101, 2.0, -v28
	v_sub_f32_e32 v31, v102, v96
	v_sub_f32_e32 v91, v103, v91
	;; [unrolled: 1-line block ×9, first 2 shown]
	v_fma_f32 v93, v102, 2.0, -v31
	v_fma_f32 v94, v103, 2.0, -v91
	;; [unrolled: 1-line block ×9, first 2 shown]
	ds_write2_b32 v118, v30, v28 offset1:120
	ds_write2_b32 v121, v93, v31 offset1:120
	;; [unrolled: 1-line block ×10, first 2 shown]
	v_lshlrev_b64 v[30:31], 3, v[0:1]
	v_add_u32_e32 v1, 0xffffff90, v0
	v_cmp_gt_u32_e64 s[0:1], s0, v15
	v_cndmask_b32_e64 v28, v1, v15, s[0:1]
	v_lshlrev_b64 v[32:33], 3, v[28:29]
	s_waitcnt lgkmcnt(0)
	v_add_co_u32_e64 v91, s[0:1], s8, v32
	v_addc_co_u32_e64 v92, s[0:1], v59, v33, s[0:1]
	v_add_co_u32_e64 v32, s[0:1], s8, v30
	v_addc_co_u32_e64 v33, s[0:1], v59, v31, s[0:1]
	s_barrier
	global_load_dwordx2 v[93:94], v[32:33], off offset:1968
	v_lshrrev_b32_e32 v1, 23, v36
	global_load_dwordx2 v[91:92], v[91:92], off offset:1840
	v_mul_lo_u16_e32 v36, 0xf0, v1
	v_sub_u16_e32 v119, v26, v36
	v_lshlrev_b32_e32 v36, 3, v119
	v_lshrrev_b32_e32 v121, 23, v61
	v_sub_u16_e32 v120, v22, v60
	global_load_dwordx2 v[60:61], v36, s[8:9] offset:1840
	v_mul_lo_u16_e32 v36, 0xf0, v121
	v_sub_u16_e32 v122, v24, v36
	v_lshlrev_b32_e32 v99, 3, v120
	v_lshlrev_b32_e32 v36, 3, v122
	global_load_dwordx2 v[95:96], v99, s[8:9] offset:1840
	global_load_dwordx2 v[97:98], v36, s[8:9] offset:1840
	v_lshrrev_b32_e32 v36, 23, v37
	v_mul_lo_u16_e32 v36, 0xf0, v36
	v_lshrrev_b32_e32 v124, 23, v12
	v_sub_u16_e32 v123, v20, v36
	v_mul_lo_u16_e32 v37, 0xf0, v124
	v_lshrrev_b32_e32 v100, 23, v41
	v_lshlrev_b32_e32 v36, 3, v123
	v_sub_u16_e32 v125, v6, v37
	v_mul_lo_u16_e32 v100, 0xf0, v100
	v_lshrrev_b32_e32 v127, 23, v42
	v_lshlrev_b32_e32 v99, 3, v125
	global_load_dwordx2 v[36:37], v36, s[8:9] offset:1840
	v_sub_u16_e32 v126, v10, v100
	global_load_dwordx2 v[99:100], v99, s[8:9] offset:1840
	v_mul_lo_u16_e32 v102, 0xf0, v127
	v_lshlrev_b32_e32 v101, 3, v126
	v_sub_u16_e32 v128, v4, v102
	global_load_dwordx2 v[101:102], v101, s[8:9] offset:1840
	v_lshlrev_b32_e32 v103, 3, v128
	global_load_dwordx2 v[103:104], v103, s[8:9] offset:1840
	v_lshrrev_b32_e32 v105, 23, v43
	v_mul_lo_u16_e32 v105, 0xf0, v105
	v_lshrrev_b32_e32 v130, 23, v14
	v_sub_u16_e32 v129, v7, v105
	v_mul_lo_u16_e32 v107, 0xf0, v130
	v_lshlrev_b32_e32 v105, 3, v129
	v_sub_u16_e32 v131, v13, v107
	global_load_dwordx2 v[105:106], v105, s[8:9] offset:1840
	v_lshlrev_b32_e32 v107, 3, v131
	global_load_dwordx2 v[107:108], v107, s[8:9] offset:1840
	v_lshrrev_b32_e32 v109, 23, v40
	v_mul_lo_u16_e32 v109, 0xf0, v109
	v_lshrrev_b32_e32 v133, 23, v38
	v_sub_u16_e32 v132, v8, v109
	v_mul_lo_u16_e32 v111, 0xf0, v133
	v_lshlrev_b32_e32 v109, 3, v132
	global_load_dwordx2 v[109:110], v109, s[8:9] offset:1840
	v_sub_u16_e32 v134, v11, v111
	v_lshlrev_b32_e32 v111, 3, v134
	global_load_dwordx2 v[111:112], v111, s[8:9] offset:1840
	v_lshrrev_b32_e32 v113, 23, v39
	v_mul_lo_u16_e32 v113, 0xf0, v113
	v_sub_u16_e32 v135, v19, v113
	v_lshlrev_b32_e32 v113, 3, v135
	global_load_dwordx2 v[113:114], v113, s[8:9] offset:1840
	s_nop 0
	global_load_dwordx2 v[115:116], v[32:33], off offset:1840
	ds_read2st64_b32 v[117:118], v45 offset0:32 offset1:34
	s_movk_i32 s0, 0xef
	v_cmp_lt_u32_e64 s[0:1], s0, v15
	v_lshlrev_b32_e32 v28, 2, v28
	v_mul_u32_u24_e32 v1, 0x780, v1
	v_mul_lo_u16_sdwa v43, v43, s5 dst_sel:DWORD dst_unused:UNUSED_PAD src0_sel:BYTE_3 src1_sel:DWORD
	v_mul_lo_u16_sdwa v40, v40, s5 dst_sel:DWORD dst_unused:UNUSED_PAD src0_sel:BYTE_3 src1_sel:DWORD
	;; [unrolled: 1-line block ×3, first 2 shown]
	v_lshlrev_b64 v[22:23], 3, v[22:23]
	v_lshlrev_b64 v[24:25], 3, v[24:25]
	;; [unrolled: 1-line block ×3, first 2 shown]
	s_waitcnt vmcnt(14) lgkmcnt(0)
	v_mul_f32_e32 v137, v118, v94
	v_fmac_f32_e32 v137, v77, v93
	s_waitcnt vmcnt(13)
	v_mul_f32_e32 v136, v117, v92
	v_fmac_f32_e32 v136, v76, v91
	v_mul_f32_e32 v76, v76, v92
	v_fma_f32 v117, v117, v91, -v76
	ds_read2st64_b32 v[91:92], v45 offset0:36 offset1:38
	v_mul_f32_e32 v76, v77, v94
	v_fma_f32 v93, v118, v93, -v76
	s_waitcnt vmcnt(12) lgkmcnt(0)
	v_mul_f32_e32 v94, v91, v61
	v_mul_f32_e32 v61, v78, v61
	v_fmac_f32_e32 v94, v78, v60
	v_fma_f32 v118, v91, v60, -v61
	ds_read2st64_b32 v[60:61], v45 offset0:40 offset1:42
	s_waitcnt vmcnt(11)
	v_mul_f32_e32 v91, v92, v96
	v_mul_f32_e32 v76, v79, v96
	v_fmac_f32_e32 v91, v79, v95
	v_fma_f32 v95, v92, v95, -v76
	ds_read2st64_b32 v[76:77], v45 offset0:44 offset1:46
	s_waitcnt vmcnt(10)
	v_mul_f32_e32 v78, v80, v98
	s_waitcnt lgkmcnt(1)
	v_mul_f32_e32 v92, v60, v98
	v_fma_f32 v96, v60, v97, -v78
	ds_read2st64_b32 v[78:79], v45 offset0:48 offset1:50
	v_fmac_f32_e32 v92, v80, v97
	s_waitcnt vmcnt(9)
	v_mul_f32_e32 v80, v61, v37
	v_mul_f32_e32 v37, v81, v37
	v_fmac_f32_e32 v80, v81, v36
	v_fma_f32 v97, v61, v36, -v37
	s_waitcnt vmcnt(8)
	v_mul_f32_e32 v36, v82, v100
	s_waitcnt lgkmcnt(1)
	v_mul_f32_e32 v81, v76, v100
	v_fma_f32 v98, v76, v99, -v36
	s_waitcnt vmcnt(7)
	v_mul_f32_e32 v36, v83, v102
	v_fmac_f32_e32 v81, v82, v99
	v_fma_f32 v99, v77, v101, -v36
	s_waitcnt vmcnt(6)
	v_mul_f32_e32 v36, v84, v104
	s_waitcnt lgkmcnt(0)
	v_fma_f32 v100, v78, v103, -v36
	ds_read2st64_b32 v[36:37], v45 offset0:52 offset1:54
	v_mul_f32_e32 v76, v77, v102
	v_fmac_f32_e32 v76, v83, v101
	s_waitcnt vmcnt(5)
	v_mul_f32_e32 v60, v85, v106
	v_fma_f32 v101, v79, v105, -v60
	s_waitcnt vmcnt(4)
	v_mul_f32_e32 v60, v86, v108
	s_waitcnt lgkmcnt(0)
	v_fma_f32 v102, v36, v107, -v60
	ds_read2st64_b32 v[60:61], v45 offset0:56 offset1:58
	v_mul_f32_e32 v77, v78, v104
	v_mul_f32_e32 v78, v79, v106
	;; [unrolled: 1-line block ×3, first 2 shown]
	v_fmac_f32_e32 v77, v84, v103
	s_waitcnt vmcnt(3)
	v_mul_f32_e32 v36, v87, v110
	v_fma_f32 v103, v37, v109, -v36
	v_mul_f32_e32 v82, v37, v110
	s_waitcnt vmcnt(2)
	v_mul_f32_e32 v36, v88, v112
	s_waitcnt lgkmcnt(0)
	v_fma_f32 v104, v60, v111, -v36
	ds_read2st64_b32 v[36:37], v45 offset1:30
	v_mul_f32_e32 v83, v60, v112
	s_waitcnt vmcnt(1)
	v_mul_f32_e32 v84, v61, v114
	v_mul_f32_e32 v60, v89, v114
	v_fmac_f32_e32 v84, v89, v113
	v_fma_f32 v89, v61, v113, -v60
	s_waitcnt vmcnt(0) lgkmcnt(0)
	v_mul_f32_e32 v60, v37, v116
	v_fmac_f32_e32 v60, v35, v115
	v_mul_f32_e32 v35, v35, v116
	v_fma_f32 v35, v37, v115, -v35
	v_sub_f32_e32 v37, v34, v60
	v_fma_f32 v34, v34, 2.0, -v37
	v_fmac_f32_e32 v78, v85, v105
	v_fmac_f32_e32 v79, v86, v107
	;; [unrolled: 1-line block ×4, first 2 shown]
	ds_read_b32 v105, v5
	ds_read_b32 v106, v9
	;; [unrolled: 1-line block ×14, first 2 shown]
	s_waitcnt lgkmcnt(0)
	s_barrier
	ds_write2_b32 v45, v34, v37 offset1:240
	v_mov_b32_e32 v34, 0x780
	v_cndmask_b32_e64 v34, 0, v34, s[0:1]
	v_add3_u32 v28, 0, v34, v28
	v_sub_f32_e32 v34, v75, v136
	v_fma_f32 v37, v75, 2.0, -v34
	ds_write2_b32 v28, v37, v34 offset1:240
	v_sub_f32_e32 v34, v74, v137
	v_lshl_add_u32 v60, v0, 2, 0
	v_fma_f32 v37, v74, 2.0, -v34
	v_add_u32_e32 v136, 0x7c0, v60
	ds_write2_b32 v136, v37, v34 offset1:240
	v_lshlrev_b32_e32 v34, 2, v119
	v_add3_u32 v1, 0, v1, v34
	v_sub_f32_e32 v34, v73, v94
	v_fma_f32 v37, v73, 2.0, -v34
	ds_write2_b32 v1, v37, v34 offset1:240
	v_sub_f32_e32 v34, v72, v91
	v_lshl_add_u32 v61, v120, 2, 0
	v_fma_f32 v37, v72, 2.0, -v34
	v_add_u32_e32 v94, 0xf00, v61
	ds_write2_b32 v94, v37, v34 offset1:240
	v_mul_u32_u24_e32 v34, 0x780, v121
	v_lshlrev_b32_e32 v37, 2, v122
	v_add3_u32 v34, 0, v34, v37
	v_sub_f32_e32 v37, v70, v92
	v_fma_f32 v61, v70, 2.0, -v37
	ds_write2_b32 v34, v61, v37 offset1:240
	v_sub_f32_e32 v37, v71, v80
	v_lshl_add_u32 v70, v123, 2, 0
	v_fma_f32 v61, v71, 2.0, -v37
	v_add_u32_e32 v119, 0x1680, v70
	ds_write2_b32 v119, v61, v37 offset1:240
	v_mul_u32_u24_e32 v37, 0x780, v124
	v_lshlrev_b32_e32 v61, 2, v125
	v_add3_u32 v37, 0, v37, v61
	v_sub_f32_e32 v61, v69, v81
	v_fma_f32 v69, v69, 2.0, -v61
	ds_write2_b32 v37, v69, v61 offset1:240
	v_sub_f32_e32 v61, v68, v76
	v_lshl_add_u32 v69, v126, 2, 0
	v_fma_f32 v68, v68, 2.0, -v61
	v_add_u32_e32 v120, 0x1e00, v69
	ds_write2_b32 v120, v68, v61 offset1:240
	v_sub_f32_e32 v61, v62, v77
	v_mul_u32_u24_e32 v73, 0x780, v127
	v_lshlrev_b32_e32 v74, 2, v128
	v_fma_f32 v62, v62, 2.0, -v61
	v_add3_u32 v121, 0, v73, v74
	ds_write2_b32 v121, v62, v61 offset1:240
	v_lshl_add_u32 v61, v129, 2, 0
	v_add_u32_e32 v122, 0x2580, v61
	v_mul_u32_u24_e32 v61, 0x780, v130
	v_lshlrev_b32_e32 v62, 2, v131
	v_add3_u32 v123, 0, v61, v62
	v_lshl_add_u32 v61, v132, 2, 0
	v_add_u32_e32 v124, 0x2d00, v61
	v_mul_u32_u24_e32 v61, 0x780, v133
	v_lshlrev_b32_e32 v62, 2, v134
	v_sub_f32_e32 v35, v36, v35
	v_sub_f32_e32 v68, v66, v78
	v_sub_f32_e32 v69, v64, v79
	v_sub_f32_e32 v70, v65, v82
	v_sub_f32_e32 v71, v63, v83
	v_sub_f32_e32 v72, v67, v84
	v_add3_u32 v125, 0, v61, v62
	v_lshl_add_u32 v61, v135, 2, 0
	v_fma_f32 v36, v36, 2.0, -v35
	v_fma_f32 v66, v66, 2.0, -v68
	;; [unrolled: 1-line block ×6, first 2 shown]
	v_add_u32_e32 v126, 0x3480, v61
	ds_write2_b32 v122, v66, v68 offset1:240
	ds_write2_b32 v123, v64, v69 offset1:240
	;; [unrolled: 1-line block ×5, first 2 shown]
	s_waitcnt lgkmcnt(0)
	s_barrier
	ds_read2st64_b32 v[75:76], v45 offset1:30
	ds_read_b32 v63, v47
	ds_read_b32 v68, v51
	;; [unrolled: 1-line block ×14, first 2 shown]
	ds_read2st64_b32 v[77:78], v45 offset0:32 offset1:34
	ds_read2st64_b32 v[79:80], v45 offset0:36 offset1:38
	;; [unrolled: 1-line block ×7, first 2 shown]
	s_waitcnt lgkmcnt(0)
	s_barrier
	ds_write2_b32 v45, v36, v35 offset1:240
	v_sub_f32_e32 v35, v105, v117
	v_fma_f32 v36, v105, 2.0, -v35
	ds_write2_b32 v28, v36, v35 offset1:240
	v_sub_f32_e32 v28, v106, v93
	v_fma_f32 v35, v106, 2.0, -v28
	;; [unrolled: 3-line block ×5, first 2 shown]
	v_sub_f32_e32 v35, v108, v97
	v_sub_f32_e32 v93, v109, v98
	;; [unrolled: 1-line block ×9, first 2 shown]
	v_fma_f32 v36, v108, 2.0, -v35
	v_fma_f32 v94, v109, 2.0, -v93
	;; [unrolled: 1-line block ×9, first 2 shown]
	ds_write2_b32 v34, v28, v1 offset1:240
	ds_write2_b32 v119, v36, v35 offset1:240
	;; [unrolled: 1-line block ×10, first 2 shown]
	v_lshlrev_b64 v[34:35], 3, v[15:16]
	v_lshlrev_b64 v[36:37], 3, v[17:18]
	v_add_co_u32_e64 v34, s[0:1], s8, v34
	v_addc_co_u32_e64 v35, s[0:1], v59, v35, s[0:1]
	v_add_co_u32_e64 v36, s[0:1], s8, v36
	v_addc_co_u32_e64 v37, s[0:1], v59, v37, s[0:1]
	v_add_u32_e32 v0, 0xffffffa0, v0
	v_cmp_gt_u32_e64 s[0:1], s5, v26
	v_cndmask_b32_e64 v28, v0, v26, s[0:1]
	s_waitcnt lgkmcnt(0)
	s_barrier
	global_load_dwordx2 v[93:94], v[34:35], off offset:3760
	global_load_dwordx2 v[95:96], v[36:37], off offset:3760
	v_lshlrev_b64 v[0:1], 3, v[28:29]
	v_mul_lo_u16_sdwa v16, v12, s5 dst_sel:DWORD dst_unused:UNUSED_PAD src0_sel:BYTE_3 src1_sel:DWORD
	v_add_co_u32_e64 v0, s[0:1], s8, v0
	v_addc_co_u32_e64 v1, s[0:1], v59, v1, s[0:1]
	global_load_dwordx2 v[97:98], v[0:1], off offset:3760
	global_load_dwordx2 v[99:100], v[32:33], off offset:4016
	v_add_co_u32_e64 v0, s[0:1], s4, v32
	v_sub_u16_e32 v16, v6, v16
	v_sub_u16_e32 v121, v7, v43
	;; [unrolled: 1-line block ×4, first 2 shown]
	v_addc_co_u32_e64 v1, s[0:1], 0, v33, s[0:1]
	v_lshlrev_b32_e32 v18, 3, v16
	v_lshlrev_b32_e32 v43, 3, v121
	;; [unrolled: 1-line block ×4, first 2 shown]
	global_load_dwordx2 v[101:102], v[0:1], off offset:944
	global_load_dwordx2 v[103:104], v[0:1], off offset:1968
	global_load_dwordx2 v[105:106], v18, s[8:9] offset:3760
	global_load_dwordx2 v[115:116], v38, s[8:9] offset:3760
	v_mul_lo_u16_sdwa v18, v41, s5 dst_sel:DWORD dst_unused:UNUSED_PAD src0_sel:BYTE_3 src1_sel:DWORD
	global_load_dwordx2 v[109:110], v43, s[8:9] offset:3760
	global_load_dwordx2 v[113:114], v40, s[8:9] offset:3760
	v_mul_lo_u16_sdwa v43, v14, s5 dst_sel:DWORD dst_unused:UNUSED_PAD src0_sel:BYTE_3 src1_sel:DWORD
	v_sub_u16_e32 v18, v10, v18
	v_sub_u16_e32 v122, v13, v43
	v_lshlrev_b32_e32 v41, 3, v18
	v_lshlrev_b32_e32 v43, 3, v122
	global_load_dwordx2 v[107:108], v41, s[8:9] offset:3760
	global_load_dwordx2 v[111:112], v43, s[8:9] offset:3760
	v_mul_lo_u16_sdwa v41, v42, s5 dst_sel:DWORD dst_unused:UNUSED_PAD src0_sel:BYTE_3 src1_sel:DWORD
	v_sub_u16_e32 v89, v4, v41
	v_lshlrev_b32_e32 v41, 3, v89
	global_load_dwordx2 v[41:42], v41, s[8:9] offset:3760
	v_mul_lo_u16_sdwa v38, v39, s5 dst_sel:DWORD dst_unused:UNUSED_PAD src0_sel:BYTE_3 src1_sel:DWORD
	v_sub_u16_e32 v125, v19, v38
	v_lshlrev_b32_e32 v40, 3, v125
	global_load_dwordx2 v[38:39], v40, s[8:9] offset:3760
	global_load_dwordx2 v[117:118], v[32:33], off offset:3760
	ds_read2st64_b32 v[119:120], v45 offset0:32 offset1:34
	s_movk_i32 s0, 0x1df
	v_cmp_lt_u32_e64 s[0:1], s0, v26
	v_lshlrev_b32_e32 v28, 2, v28
	v_lshlrev_b32_e32 v16, 2, v16
	v_lshl_add_u32 v18, v18, 2, 0
	v_lshlrev_b64 v[26:27], 3, v[26:27]
	s_movk_i32 s5, 0x3c0
	s_waitcnt vmcnt(14) lgkmcnt(0)
	v_mul_f32_e32 v126, v119, v94
	v_mul_f32_e32 v40, v77, v94
	v_fmac_f32_e32 v126, v77, v93
	v_fma_f32 v119, v119, v93, -v40
	ds_read2st64_b32 v[93:94], v45 offset0:36 offset1:38
	s_waitcnt vmcnt(13)
	v_mul_f32_e32 v127, v120, v96
	v_fmac_f32_e32 v127, v78, v95
	v_mul_f32_e32 v40, v78, v96
	ds_read2st64_b32 v[77:78], v45 offset0:40 offset1:42
	v_fma_f32 v120, v120, v95, -v40
	s_waitcnt vmcnt(12) lgkmcnt(1)
	v_mul_f32_e32 v128, v93, v98
	v_mul_f32_e32 v40, v79, v98
	v_fmac_f32_e32 v128, v79, v97
	v_fma_f32 v93, v93, v97, -v40
	ds_read2st64_b32 v[95:96], v45 offset0:44 offset1:46
	s_waitcnt vmcnt(11)
	v_mul_f32_e32 v97, v94, v100
	v_fmac_f32_e32 v97, v80, v99
	v_mul_f32_e32 v40, v80, v100
	ds_read2st64_b32 v[79:80], v45 offset0:48 offset1:50
	v_fma_f32 v94, v94, v99, -v40
	s_waitcnt vmcnt(10)
	v_mul_f32_e32 v40, v81, v102
	s_waitcnt lgkmcnt(2)
	v_fma_f32 v99, v77, v101, -v40
	s_waitcnt vmcnt(9)
	v_mul_f32_e32 v40, v82, v104
	v_fma_f32 v100, v78, v103, -v40
	s_waitcnt vmcnt(8)
	v_mul_f32_e32 v40, v83, v106
	v_mul_f32_e32 v98, v77, v102
	;; [unrolled: 1-line block ×3, first 2 shown]
	s_waitcnt lgkmcnt(1)
	v_mul_f32_e32 v78, v95, v106
	v_fma_f32 v95, v95, v105, -v40
	v_fmac_f32_e32 v98, v81, v101
	v_fmac_f32_e32 v77, v82, v103
	;; [unrolled: 1-line block ×3, first 2 shown]
	s_waitcnt vmcnt(4)
	v_mul_f32_e32 v40, v84, v108
	v_mul_f32_e32 v81, v96, v108
	v_fma_f32 v96, v96, v107, -v40
	v_fmac_f32_e32 v81, v84, v107
	s_waitcnt vmcnt(2) lgkmcnt(0)
	v_mul_f32_e32 v82, v79, v42
	v_mul_f32_e32 v40, v85, v42
	v_fmac_f32_e32 v82, v85, v41
	v_fma_f32 v101, v79, v41, -v40
	ds_read2st64_b32 v[40:41], v45 offset0:52 offset1:54
	v_mul_f32_e32 v42, v86, v110
	v_fma_f32 v102, v80, v109, -v42
	v_mul_f32_e32 v42, v87, v112
	v_mul_f32_e32 v79, v80, v110
	s_waitcnt lgkmcnt(0)
	v_fma_f32 v103, v40, v111, -v42
	ds_read2st64_b32 v[42:43], v45 offset0:56 offset1:58
	v_mul_f32_e32 v80, v40, v112
	v_mul_f32_e32 v83, v41, v114
	;; [unrolled: 1-line block ×3, first 2 shown]
	v_fmac_f32_e32 v83, v88, v113
	v_fma_f32 v88, v41, v113, -v40
	ds_read2st64_b32 v[40:41], v45 offset1:30
	s_waitcnt lgkmcnt(1)
	v_mul_f32_e32 v84, v42, v116
	v_mul_f32_e32 v85, v91, v116
	v_fmac_f32_e32 v84, v91, v115
	v_fma_f32 v91, v42, v115, -v85
	s_waitcnt vmcnt(1)
	v_mul_f32_e32 v42, v43, v39
	v_mul_f32_e32 v39, v92, v39
	v_fmac_f32_e32 v42, v92, v38
	v_fma_f32 v105, v43, v38, -v39
	s_waitcnt vmcnt(0) lgkmcnt(0)
	v_mul_f32_e32 v38, v41, v118
	v_fmac_f32_e32 v38, v76, v117
	v_mul_f32_e32 v39, v76, v118
	v_fma_f32 v39, v41, v117, -v39
	v_sub_f32_e32 v38, v75, v38
	v_sub_f32_e32 v107, v40, v39
	v_fma_f32 v39, v75, 2.0, -v38
	v_fmac_f32_e32 v79, v86, v109
	v_fmac_f32_e32 v80, v87, v111
	ds_read_b32 v92, v5
	ds_read_b32 v104, v9
	;; [unrolled: 1-line block ×14, first 2 shown]
	s_waitcnt lgkmcnt(0)
	s_barrier
	ds_write_b32 v45, v39
	ds_write_b32 v45, v38 offset:1920
	v_sub_f32_e32 v38, v74, v126
	v_fma_f32 v39, v74, 2.0, -v38
	ds_write_b32 v5, v39
	ds_write_b32 v5, v38 offset:1920
	v_sub_f32_e32 v38, v73, v127
	v_fma_f32 v39, v73, 2.0, -v38
	ds_write_b32 v9, v39
	ds_write_b32 v9, v38 offset:1920
	v_mov_b32_e32 v38, 0xf00
	v_cndmask_b32_e64 v38, 0, v38, s[0:1]
	v_add3_u32 v28, 0, v38, v28
	v_sub_f32_e32 v38, v72, v128
	v_fma_f32 v39, v72, 2.0, -v38
	v_sub_f32_e32 v41, v63, v98
	ds_write_b32 v28, v39
	s_movk_i32 s0, 0xf00
	v_sub_f32_e32 v39, v71, v97
	v_fma_f32 v43, v63, 2.0, -v41
	v_sub_f32_e32 v63, v68, v77
	v_fma_f32 v108, v40, 2.0, -v107
	v_fma_f32 v40, v71, 2.0, -v39
	;; [unrolled: 1-line block ×3, first 2 shown]
	v_sub_f32_e32 v71, v64, v78
	v_sub_f32_e32 v72, v65, v81
	;; [unrolled: 1-line block ×3, first 2 shown]
	v_add_u32_e32 v97, 0x80, v60
	v_add_u32_e32 v98, 0x1380, v60
	v_mul_u32_u24_sdwa v12, v12, s0 dst_sel:DWORD dst_unused:UNUSED_PAD src0_sel:BYTE_3 src1_sel:DWORD
	v_fma_f32 v64, v64, 2.0, -v71
	v_fma_f32 v65, v65, 2.0, -v72
	v_fma_f32 v61, v61, 2.0, -v73
	v_sub_f32_e32 v74, v69, v79
	v_sub_f32_e32 v75, v66, v80
	ds_write_b32 v28, v38 offset:1920
	ds_write2st64_b32 v97, v40, v43 offset0:15 offset1:17
	ds_write2_b32 v98, v68, v39 offset1:224
	ds_write2st64_b32 v60, v41, v63 offset0:25 offset1:27
	v_add3_u32 v16, 0, v12, v16
	v_lshl_add_u32 v63, v89, 2, 0
	v_mul_u32_u24_sdwa v12, v14, s0 dst_sel:DWORD dst_unused:UNUSED_PAD src0_sel:BYTE_3 src1_sel:DWORD
	v_lshlrev_b32_e32 v14, 2, v122
	v_fma_f32 v69, v69, 2.0, -v74
	v_fma_f32 v66, v66, 2.0, -v75
	v_sub_f32_e32 v76, v67, v83
	v_sub_f32_e32 v77, v62, v84
	ds_write_b32 v16, v64
	ds_write_b32 v16, v71 offset:1920
	ds_write_b32 v18, v65 offset:7680
	;; [unrolled: 1-line block ×5, first 2 shown]
	v_lshl_add_u32 v61, v121, 2, 0
	v_add3_u32 v64, 0, v12, v14
	v_fma_f32 v67, v67, 2.0, -v76
	v_fma_f32 v62, v62, 2.0, -v77
	v_sub_f32_e32 v42, v70, v42
	ds_write_b32 v61, v69 offset:7680
	ds_write_b32 v61, v74 offset:9600
	ds_write_b32 v64, v66
	ds_write_b32 v64, v75 offset:1920
	v_lshl_add_u32 v65, v123, 2, 0
	v_lshl_add_u32 v66, v124, 2, 0
	v_sub_f32_e32 v89, v92, v119
	v_fma_f32 v70, v70, 2.0, -v42
	ds_write_b32 v65, v67 offset:11520
	ds_write_b32 v65, v76 offset:13440
	;; [unrolled: 1-line block ×4, first 2 shown]
	v_lshl_add_u32 v62, v125, 2, 0
	v_fma_f32 v92, v92, 2.0, -v89
	ds_write_b32 v62, v70 offset:11520
	ds_write_b32 v62, v42 offset:13440
	s_waitcnt lgkmcnt(0)
	s_barrier
	ds_read2st64_b32 v[38:39], v45 offset1:30
	ds_read2st64_b32 v[74:75], v45 offset0:32 offset1:34
	ds_read2st64_b32 v[76:77], v45 offset0:36 offset1:38
	ds_read_b32 v69, v47
	ds_read2st64_b32 v[78:79], v45 offset0:40 offset1:42
	ds_read2st64_b32 v[80:81], v45 offset0:44 offset1:46
	ds_read_b32 v70, v51
	ds_read_b32 v68, v52
	;; [unrolled: 1-line block ×13, first 2 shown]
	ds_read2st64_b32 v[82:83], v45 offset0:48 offset1:50
	ds_read2st64_b32 v[84:85], v45 offset0:52 offset1:54
	;; [unrolled: 1-line block ×3, first 2 shown]
	s_waitcnt lgkmcnt(0)
	s_barrier
	ds_write_b32 v45, v108
	ds_write_b32 v45, v107 offset:1920
	ds_write_b32 v5, v92
	ds_write_b32 v5, v89 offset:1920
	v_sub_f32_e32 v89, v104, v120
	v_fma_f32 v92, v104, 2.0, -v89
	ds_write_b32 v9, v92
	ds_write_b32 v9, v89 offset:1920
	v_sub_f32_e32 v89, v114, v93
	v_fma_f32 v92, v114, 2.0, -v89
	ds_write_b32 v28, v92
	v_sub_f32_e32 v92, v113, v94
	v_sub_f32_e32 v94, v106, v99
	;; [unrolled: 1-line block ×11, first 2 shown]
	v_fma_f32 v93, v113, 2.0, -v92
	v_fma_f32 v99, v106, 2.0, -v94
	;; [unrolled: 1-line block ×11, first 2 shown]
	ds_write_b32 v28, v89 offset:1920
	ds_write2st64_b32 v97, v93, v99 offset0:15 offset1:17
	ds_write2_b32 v98, v104, v92 offset1:224
	ds_write2st64_b32 v60, v94, v100 offset0:25 offset1:27
	ds_write_b32 v16, v106
	ds_write_b32 v16, v95 offset:1920
	ds_write_b32 v18, v107 offset:7680
	;; [unrolled: 1-line block ×7, first 2 shown]
	ds_write_b32 v64, v110
	ds_write_b32 v64, v103 offset:1920
	ds_write_b32 v65, v111 offset:11520
	ds_write_b32 v65, v88 offset:13440
	ds_write_b32 v66, v112 offset:11520
	ds_write_b32 v66, v91 offset:13440
	ds_write_b32 v62, v113 offset:11520
	ds_write_b32 v62, v105 offset:13440
	v_add_co_u32_e64 v61, s[0:1], s4, v34
	v_addc_co_u32_e64 v62, s[0:1], 0, v35, s[0:1]
	v_add_co_u32_e64 v63, s[0:1], s4, v36
	v_addc_co_u32_e64 v64, s[0:1], 0, v37, s[0:1]
	;; [unrolled: 2-line block ×4, first 2 shown]
	s_waitcnt lgkmcnt(0)
	s_barrier
	global_load_dwordx2 v[88:89], v[61:62], off offset:3504
	global_load_dwordx2 v[91:92], v[63:64], off offset:3504
	v_add_co_u32_e64 v61, s[0:1], s8, v22
	v_addc_co_u32_e64 v62, s[0:1], v59, v23, s[0:1]
	v_add_co_u32_e64 v22, s[0:1], s4, v61
	v_addc_co_u32_e64 v23, s[0:1], 0, v62, s[0:1]
	;; [unrolled: 2-line block ×5, first 2 shown]
	v_add_co_u32_e64 v20, s[0:1], s4, v65
	global_load_dwordx2 v[26:27], v[26:27], off offset:3504
	v_addc_co_u32_e64 v21, s[0:1], 0, v66, s[0:1]
	global_load_dwordx2 v[93:94], v[22:23], off offset:3504
	global_load_dwordx2 v[95:96], v[24:25], off offset:3504
	;; [unrolled: 1-line block ×3, first 2 shown]
	v_add_u32_e32 v20, 0xfffffc40, v6
	v_cmp_gt_u32_e64 s[0:1], s5, v6
	v_cndmask_b32_e64 v28, v20, v6, s[0:1]
	v_lshlrev_b64 v[20:21], 3, v[28:29]
	v_add_u32_e32 v107, 0x1600, v90
	v_add_co_u32_e64 v20, s[0:1], s8, v20
	v_addc_co_u32_e64 v21, s[0:1], v59, v21, s[0:1]
	v_add_co_u32_e64 v20, s[0:1], s4, v20
	v_addc_co_u32_e64 v21, s[0:1], 0, v21, s[0:1]
	s_movk_i32 s0, 0x2000
	global_load_dwordx2 v[22:23], v[20:21], off offset:3504
	global_load_dwordx2 v[24:25], v[0:1], off offset:4016
	v_add_co_u32_e64 v20, s[0:1], s0, v32
	v_addc_co_u32_e64 v21, s[0:1], 0, v33, s[0:1]
	global_load_dwordx2 v[99:100], v[20:21], off offset:944
	global_load_dwordx2 v[101:102], v[0:1], off offset:3504
	ds_read2st64_b32 v[0:1], v45 offset0:32 offset1:34
	global_load_dwordx2 v[103:104], v[20:21], off offset:1968
	global_load_dwordx2 v[105:106], v[20:21], off offset:2992
	v_add_u32_e32 v20, 0x1200, v90
	v_add_co_u32_e64 v20, s[0:1], s8, v20
	v_addc_co_u32_e64 v21, s[0:1], 0, v59, s[0:1]
	v_add_co_u32_e64 v20, s[0:1], s4, v20
	v_addc_co_u32_e64 v21, s[0:1], 0, v21, s[0:1]
	v_add_co_u32_e64 v107, s[0:1], s8, v107
	global_load_dwordx2 v[20:21], v[20:21], off offset:3504
	v_addc_co_u32_e64 v108, s[0:1], 0, v59, s[0:1]
	v_add_co_u32_e64 v107, s[0:1], s4, v107
	v_addc_co_u32_e64 v108, s[0:1], 0, v108, s[0:1]
	global_load_dwordx2 v[107:108], v[107:108], off offset:3504
	v_add_u32_e32 v109, 0x1a00, v90
	v_add_co_u32_e64 v109, s[0:1], s8, v109
	v_addc_co_u32_e64 v59, s[0:1], 0, v59, s[0:1]
	v_add_co_u32_e64 v109, s[0:1], s4, v109
	v_addc_co_u32_e64 v110, s[0:1], 0, v59, s[0:1]
	global_load_dwordx2 v[109:110], v[109:110], off offset:3504
	ds_read2st64_b32 v[111:112], v45 offset1:30
	s_waitcnt vmcnt(14) lgkmcnt(1)
	v_mul_f32_e32 v59, v0, v89
	v_fmac_f32_e32 v59, v74, v88
	v_mul_f32_e32 v74, v74, v89
	v_fma_f32 v113, v0, v88, -v74
	ds_read2st64_b32 v[88:89], v45 offset0:36 offset1:38
	s_waitcnt vmcnt(13)
	v_mul_f32_e32 v114, v1, v92
	v_mul_f32_e32 v0, v75, v92
	v_fmac_f32_e32 v114, v75, v91
	v_fma_f32 v91, v1, v91, -v0
	ds_read_b32 v92, v47
	s_movk_i32 s0, 0x3bf
	v_cmp_lt_u32_e64 s[0:1], s0, v6
	v_lshlrev_b32_e32 v28, 2, v28
	s_waitcnt vmcnt(12) lgkmcnt(1)
	v_mul_f32_e32 v115, v88, v27
	v_mul_f32_e32 v0, v76, v27
	v_fmac_f32_e32 v115, v76, v26
	v_fma_f32 v76, v88, v26, -v0
	ds_read2st64_b32 v[0:1], v45 offset0:40 offset1:42
	s_waitcnt vmcnt(11)
	v_mul_f32_e32 v88, v89, v94
	v_mul_f32_e32 v26, v77, v94
	v_fmac_f32_e32 v88, v77, v93
	v_fma_f32 v77, v89, v93, -v26
	ds_read2st64_b32 v[26:27], v45 offset0:44 offset1:46
	s_waitcnt vmcnt(10) lgkmcnt(1)
	v_mul_f32_e32 v89, v0, v96
	v_mul_f32_e32 v74, v78, v96
	v_fmac_f32_e32 v89, v78, v95
	v_fma_f32 v78, v0, v95, -v74
	ds_read2st64_b32 v[74:75], v45 offset0:48 offset1:50
	s_waitcnt vmcnt(9)
	v_mul_f32_e32 v93, v1, v98
	v_mul_f32_e32 v0, v79, v98
	v_fmac_f32_e32 v93, v79, v97
	v_fma_f32 v79, v1, v97, -v0
	s_waitcnt vmcnt(8) lgkmcnt(1)
	v_mul_f32_e32 v94, v26, v23
	v_mul_f32_e32 v0, v80, v23
	v_fmac_f32_e32 v94, v80, v22
	v_fma_f32 v22, v26, v22, -v0
	s_waitcnt vmcnt(7)
	v_mul_f32_e32 v23, v27, v25
	v_mul_f32_e32 v0, v81, v25
	v_fmac_f32_e32 v23, v81, v24
	ds_read_b32 v25, v51
	ds_read_b32 v26, v52
	;; [unrolled: 1-line block ×4, first 2 shown]
	v_fma_f32 v24, v27, v24, -v0
	ds_read2st64_b32 v[0:1], v45 offset0:52 offset1:54
	s_waitcnt vmcnt(6) lgkmcnt(5)
	v_mul_f32_e32 v27, v74, v100
	v_fmac_f32_e32 v27, v82, v99
	v_mul_f32_e32 v82, v82, v100
	v_fma_f32 v74, v74, v99, -v82
	s_waitcnt vmcnt(4)
	v_mul_f32_e32 v82, v75, v104
	v_fmac_f32_e32 v82, v83, v103
	v_mul_f32_e32 v83, v83, v104
	v_fma_f32 v75, v75, v103, -v83
	s_waitcnt vmcnt(3) lgkmcnt(0)
	v_mul_f32_e32 v83, v0, v106
	v_fmac_f32_e32 v83, v84, v105
	v_mul_f32_e32 v84, v84, v106
	v_fma_f32 v84, v0, v105, -v84
	s_waitcnt vmcnt(2)
	v_mul_f32_e32 v103, v1, v21
	v_mul_f32_e32 v0, v85, v21
	ds_read_b32 v95, v49
	ds_read_b32 v96, v48
	;; [unrolled: 1-line block ×6, first 2 shown]
	v_fmac_f32_e32 v103, v85, v20
	v_fma_f32 v20, v1, v20, -v0
	ds_read2st64_b32 v[0:1], v45 offset0:56 offset1:58
	v_mul_f32_e32 v21, v112, v102
	v_fmac_f32_e32 v21, v39, v101
	v_mul_f32_e32 v39, v39, v102
	v_fma_f32 v39, v112, v101, -v39
	s_waitcnt vmcnt(1) lgkmcnt(0)
	v_mul_f32_e32 v85, v0, v108
	v_fmac_f32_e32 v85, v86, v107
	v_mul_f32_e32 v86, v86, v108
	s_waitcnt vmcnt(0)
	v_mul_f32_e32 v104, v1, v110
	v_fma_f32 v0, v0, v107, -v86
	ds_read_b32 v86, v9
	ds_read_b32 v101, v5
	;; [unrolled: 1-line block ×3, first 2 shown]
	v_fmac_f32_e32 v104, v87, v109
	v_mul_f32_e32 v87, v87, v110
	v_fma_f32 v1, v1, v109, -v87
	v_sub_f32_e32 v21, v38, v21
	v_sub_f32_e32 v109, v96, v76
	v_sub_f32_e32 v76, v71, v88
	v_sub_f32_e32 v88, v95, v77
	v_sub_f32_e32 v77, v69, v89
	v_sub_f32_e32 v89, v92, v78
	v_sub_f32_e32 v78, v70, v93
	v_sub_f32_e32 v93, v25, v79
	v_sub_f32_e32 v87, v111, v39
	v_fma_f32 v38, v38, 2.0, -v21
	v_sub_f32_e32 v39, v121, v59
	v_sub_f32_e32 v107, v73, v114
	v_sub_f32_e32 v108, v72, v115
	v_fma_f32 v110, v25, 2.0, -v93
	v_sub_f32_e32 v25, v68, v94
	v_sub_f32_e32 v94, v26, v22
	v_fma_f32 v105, v111, 2.0, -v87
	v_fma_f32 v59, v121, 2.0, -v39
	;; [unrolled: 1-line block ×8, first 2 shown]
	v_sub_f32_e32 v23, v67, v23
	v_sub_f32_e32 v26, v43, v27
	s_waitcnt lgkmcnt(0)
	s_barrier
	ds_write2st64_b32 v45, v38, v21 offset1:15
	ds_write2st64_b32 v5, v59, v39 offset1:15
	;; [unrolled: 1-line block ×7, first 2 shown]
	v_mov_b32_e32 v21, 0x1e00
	v_sub_f32_e32 v106, v101, v113
	v_fma_f32 v22, v68, 2.0, -v25
	v_sub_f32_e32 v112, v80, v24
	v_fma_f32 v24, v67, 2.0, -v23
	;; [unrolled: 2-line block ×3, first 2 shown]
	v_sub_f32_e32 v43, v42, v82
	v_sub_f32_e32 v82, v97, v75
	;; [unrolled: 1-line block ×9, first 2 shown]
	v_cndmask_b32_e64 v21, 0, v21, s[0:1]
	v_fma_f32 v42, v42, 2.0, -v43
	v_fma_f32 v41, v41, 2.0, -v67
	;; [unrolled: 1-line block ×7, first 2 shown]
	v_sub_f32_e32 v99, v102, v1
	v_fma_f32 v1, v12, 2.0, -v75
	v_add3_u32 v100, 0, v21, v28
	ds_write2st64_b32 v100, v22, v25 offset1:15
	ds_write2st64_b32 v60, v24, v27 offset0:31 offset1:33
	ds_write2st64_b32 v60, v26, v43 offset0:48 offset1:50
	;; [unrolled: 1-line block ×7, first 2 shown]
	s_waitcnt lgkmcnt(0)
	s_barrier
	ds_read2st64_b32 v[0:1], v45 offset1:30
	ds_read2st64_b32 v[21:22], v45 offset0:32 offset1:34
	ds_read2st64_b32 v[23:24], v45 offset0:36 offset1:38
	ds_read_b32 v69, v47
	ds_read2st64_b32 v[25:26], v45 offset0:40 offset1:42
	ds_read2st64_b32 v[27:28], v45 offset0:44 offset1:46
	ds_read_b32 v71, v51
	ds_read_b32 v72, v52
	;; [unrolled: 1-line block ×4, first 2 shown]
	ds_read2st64_b32 v[38:39], v45 offset0:48 offset1:50
	ds_read_b32 v70, v49
	ds_read_b32 v68, v48
	ds_read_b32 v75, v50
	ds_read2st64_b32 v[40:41], v45 offset0:52 offset1:54
	ds_read_b32 v76, v55
	ds_read_b32 v77, v56
	ds_read_b32 v78, v57
	ds_read2st64_b32 v[42:43], v45 offset0:56 offset1:58
	ds_read_b32 v67, v9
	ds_read_b32 v59, v5
	ds_read_b32 v79, v58
	v_sub_f32_e32 v91, v86, v91
	v_fma_f32 v101, v101, 2.0, -v106
	v_fma_f32 v86, v86, 2.0, -v91
	;; [unrolled: 1-line block ×9, first 2 shown]
	s_waitcnt lgkmcnt(0)
	s_barrier
	ds_write2st64_b32 v45, v105, v87 offset1:15
	ds_write2st64_b32 v5, v101, v106 offset1:15
	;; [unrolled: 1-line block ×8, first 2 shown]
	ds_write2st64_b32 v60, v80, v81 offset0:31 offset1:33
	ds_write2st64_b32 v60, v113, v82 offset0:48 offset1:50
	;; [unrolled: 1-line block ×7, first 2 shown]
	s_waitcnt lgkmcnt(0)
	s_barrier
	s_and_saveexec_b64 s[0:1], vcc
	s_cbranch_execz .LBB0_15
; %bb.14:
	v_mov_b32_e32 v20, v29
	v_lshlrev_b64 v[19:20], 3, v[19:20]
	v_mov_b32_e32 v60, s9
	v_add_co_u32_e32 v5, vcc, s8, v19
	v_addc_co_u32_e32 v9, vcc, v60, v20, vcc
	v_mov_b32_e32 v12, v29
	v_add_co_u32_e32 v19, vcc, 0x3000, v5
	v_lshlrev_b64 v[11:12], 3, v[11:12]
	v_addc_co_u32_e32 v20, vcc, 0, v9, vcc
	v_add_co_u32_e32 v5, vcc, s8, v11
	s_movk_i32 s0, 0x3000
	v_addc_co_u32_e32 v9, vcc, v60, v12, vcc
	v_add_co_u32_e32 v11, vcc, s0, v5
	v_addc_co_u32_e32 v12, vcc, 0, v9, vcc
	v_mov_b32_e32 v9, v29
	v_lshlrev_b64 v[8:9], 3, v[8:9]
	global_load_dwordx2 v[80:81], v[19:20], off offset:2992
	global_load_dwordx2 v[82:83], v[11:12], off offset:2992
	v_add_co_u32_e32 v5, vcc, s8, v8
	v_addc_co_u32_e32 v9, vcc, v60, v9, vcc
	v_add_co_u32_e32 v8, vcc, s0, v5
	v_addc_co_u32_e32 v9, vcc, 0, v9, vcc
	global_load_dwordx2 v[11:12], v[8:9], off offset:2992
	v_mov_b32_e32 v14, v29
	v_lshlrev_b64 v[8:9], 3, v[13:14]
	v_mul_i32_i24_e32 v86, 0xffffffdc, v15
	v_add_co_u32_e32 v5, vcc, s8, v8
	v_addc_co_u32_e32 v9, vcc, v60, v9, vcc
	v_add_co_u32_e32 v8, vcc, s0, v5
	v_addc_co_u32_e32 v9, vcc, 0, v9, vcc
	global_load_dwordx2 v[13:14], v[8:9], off offset:2992
	v_mov_b32_e32 v8, v29
	v_lshlrev_b64 v[7:8], 3, v[7:8]
	v_mul_i32_i24_e32 v87, 0xffffffdc, v17
	v_add_co_u32_e32 v7, vcc, s8, v7
	v_addc_co_u32_e32 v8, vcc, v60, v8, vcc
	v_add_co_u32_e32 v7, vcc, s0, v7
	v_addc_co_u32_e32 v8, vcc, 0, v8, vcc
	ds_read2st64_b32 v[19:20], v45 offset0:56 offset1:58
	ds_read2st64_b32 v[84:85], v45 offset0:52 offset1:54
	ds_read_b32 v15, v58
	ds_read_b32 v17, v57
	;; [unrolled: 1-line block ×4, first 2 shown]
	global_load_dwordx2 v[8:9], v[7:8], off offset:2992
	v_mov_b32_e32 v5, v29
	v_lshlrev_b64 v[4:5], 3, v[4:5]
	v_add_co_u32_e32 v4, vcc, s8, v4
	v_addc_co_u32_e32 v5, vcc, v60, v5, vcc
	v_add_co_u32_e32 v4, vcc, s0, v4
	v_addc_co_u32_e32 v5, vcc, 0, v5, vcc
	global_load_dwordx2 v[4:5], v[4:5], off offset:2992
	s_waitcnt vmcnt(5)
	v_mul_f32_e32 v7, v43, v81
	s_waitcnt lgkmcnt(5)
	v_mul_f32_e32 v55, v20, v81
	v_fmac_f32_e32 v55, v43, v80
	v_fma_f32 v7, v80, v20, -v7
	s_waitcnt lgkmcnt(3)
	v_sub_f32_e32 v20, v15, v7
	s_waitcnt vmcnt(4)
	v_mul_f32_e32 v56, v42, v83
	v_mul_f32_e32 v57, v19, v83
	v_fmac_f32_e32 v57, v42, v82
	s_waitcnt vmcnt(3)
	v_mul_f32_e32 v58, v41, v12
	v_mul_f32_e32 v81, v85, v12
	v_fma_f32 v43, v11, v85, -v58
	v_fmac_f32_e32 v81, v41, v11
	v_mov_b32_e32 v11, v29
	v_lshlrev_b64 v[10:11], 3, v[10:11]
	v_fma_f32 v12, v82, v19, -v56
	v_add_co_u32_e32 v7, vcc, s8, v10
	v_addc_co_u32_e32 v11, vcc, v60, v11, vcc
	v_add_co_u32_e32 v10, vcc, s0, v7
	v_mov_b32_e32 v7, v29
	v_lshlrev_b64 v[6:7], 3, v[6:7]
	v_addc_co_u32_e32 v11, vcc, 0, v11, vcc
	v_add_co_u32_e32 v6, vcc, s8, v6
	v_addc_co_u32_e32 v7, vcc, v60, v7, vcc
	v_add_co_u32_e32 v6, vcc, s0, v6
	;; [unrolled: 2-line block ×5, first 2 shown]
	v_addc_co_u32_e32 v61, vcc, 0, v62, vcc
	s_waitcnt lgkmcnt(2)
	v_sub_f32_e32 v42, v17, v12
	v_add_co_u32_e32 v16, vcc, s0, v16
	v_sub_f32_e32 v19, v79, v55
	v_fma_f32 v58, v17, 2.0, -v42
	v_addc_co_u32_e32 v17, vcc, 0, v18, vcc
	v_fma_f32 v55, v79, 2.0, -v19
	global_load_dwordx2 v[79:80], v[10:11], off offset:2992
	v_fma_f32 v56, v15, 2.0, -v20
	global_load_dwordx2 v[16:17], v[16:17], off offset:2992
	v_add_co_u32_e32 v36, vcc, s0, v36
	global_load_dwordx2 v[6:7], v[6:7], off offset:2992
	s_waitcnt vmcnt(5)
	v_mul_f32_e32 v10, v40, v14
	global_load_dwordx2 v[65:66], v[65:66], off offset:2992
	v_fma_f32 v10, v13, v84, -v10
	global_load_dwordx2 v[63:64], v[63:64], off offset:2992
	s_waitcnt lgkmcnt(0)
	v_sub_f32_e32 v15, v89, v10
	global_load_dwordx2 v[60:61], v[60:61], off offset:2992
	v_mul_f32_e32 v10, v84, v14
	ds_read2st64_b32 v[83:84], v45 offset0:48 offset1:50
	v_fmac_f32_e32 v10, v40, v13
	ds_read_b32 v13, v50
	v_sub_f32_e32 v14, v76, v10
	v_addc_co_u32_e32 v37, vcc, 0, v37, vcc
	v_sub_f32_e32 v12, v88, v43
	v_sub_f32_e32 v11, v77, v81
	v_fma_f32 v81, v76, 2.0, -v14
	ds_read_b32 v18, v54
	ds_read_b32 v29, v53
	;; [unrolled: 1-line block ×6, first 2 shown]
	global_load_dwordx2 v[36:37], v[36:37], off offset:2992
	s_waitcnt vmcnt(8)
	v_mul_f32_e32 v10, v39, v9
	s_waitcnt lgkmcnt(7)
	v_fma_f32 v10, v8, v84, -v10
	s_waitcnt lgkmcnt(6)
	v_sub_f32_e32 v10, v13, v10
	v_fma_f32 v40, v13, 2.0, -v10
	v_mul_f32_e32 v13, v84, v9
	v_fmac_f32_e32 v13, v39, v8
	v_add_co_u32_e32 v8, vcc, s0, v34
	v_addc_co_u32_e32 v9, vcc, 0, v35, vcc
	global_load_dwordx2 v[34:35], v[8:9], off offset:2992
	v_add_co_u32_e32 v32, vcc, s0, v32
	v_addc_co_u32_e32 v33, vcc, 0, v33, vcc
	global_load_dwordx2 v[32:33], v[32:33], off offset:2992
	ds_read2st64_b32 v[51:52], v45 offset0:44 offset1:46
	ds_read2st64_b32 v[53:54], v45 offset0:40 offset1:42
	s_waitcnt vmcnt(9)
	v_mul_f32_e32 v8, v38, v5
	v_fma_f32 v8, v4, v83, -v8
	v_mul_f32_e32 v5, v83, v5
	s_waitcnt lgkmcnt(7)
	v_sub_f32_e32 v48, v18, v8
	v_fmac_f32_e32 v5, v38, v4
	v_sub_f32_e32 v41, v78, v57
	v_fma_f32 v57, v78, 2.0, -v41
	v_fma_f32 v78, v88, 2.0, -v12
	ds_read_b32 v88, v47
	v_sub_f32_e32 v47, v74, v5
	v_fma_f32 v49, v74, 2.0, -v47
	v_sub_f32_e32 v9, v75, v13
	v_add_u32_e32 v13, v46, v87
	v_fma_f32 v50, v18, 2.0, -v48
	v_fma_f32 v39, v75, 2.0, -v9
	;; [unrolled: 1-line block ×4, first 2 shown]
	s_waitcnt vmcnt(8)
	v_mul_f32_e32 v4, v28, v80
	s_waitcnt lgkmcnt(2)
	v_fma_f32 v4, v79, v52, -v4
	v_sub_f32_e32 v5, v29, v4
	v_mul_f32_e32 v4, v52, v80
	v_fmac_f32_e32 v4, v28, v79
	s_waitcnt vmcnt(6)
	v_mul_f32_e32 v8, v27, v7
	v_mul_f32_e32 v7, v51, v7
	v_fma_f32 v8, v6, v51, -v8
	v_fmac_f32_e32 v7, v27, v6
	s_waitcnt vmcnt(5)
	v_mul_f32_e32 v6, v26, v66
	s_waitcnt lgkmcnt(1)
	v_fma_f32 v6, v65, v54, -v6
	v_sub_f32_e32 v27, v62, v6
	v_mul_f32_e32 v6, v54, v66
	v_sub_f32_e32 v4, v73, v4
	v_fmac_f32_e32 v6, v26, v65
	v_fma_f32 v28, v73, 2.0, -v4
	v_sub_f32_e32 v26, v71, v6
	s_waitcnt vmcnt(4)
	v_mul_f32_e32 v6, v25, v64
	ds_read2st64_b32 v[73:74], v45 offset0:36 offset1:38
	v_fma_f32 v6, v63, v53, -v6
	s_waitcnt lgkmcnt(1)
	v_sub_f32_e32 v54, v88, v6
	v_mul_f32_e32 v6, v53, v64
	v_fmac_f32_e32 v6, v25, v63
	v_sub_f32_e32 v53, v69, v6
	s_waitcnt vmcnt(3)
	v_mul_f32_e32 v6, v24, v61
	s_waitcnt lgkmcnt(0)
	v_fma_f32 v6, v60, v74, -v6
	v_sub_f32_e32 v25, v76, v6
	v_mul_f32_e32 v6, v74, v61
	v_fmac_f32_e32 v6, v24, v60
	v_sub_f32_e32 v24, v70, v6
	v_mul_f32_e32 v6, v23, v17
	v_fma_f32 v6, v16, v73, -v6
	v_sub_f32_e32 v18, v85, v6
	v_mul_f32_e32 v6, v73, v17
	ds_read2st64_b32 v[73:74], v45 offset0:32 offset1:34
	ds_read_b32 v13, v13
	v_fmac_f32_e32 v6, v23, v16
	v_sub_f32_e32 v17, v68, v6
	s_waitcnt vmcnt(2)
	v_mul_f32_e32 v6, v22, v37
	s_waitcnt lgkmcnt(1)
	v_fma_f32 v6, v36, v74, -v6
	s_waitcnt lgkmcnt(0)
	v_sub_f32_e32 v23, v13, v6
	v_fma_f32 v38, v13, 2.0, -v23
	v_add_u32_e32 v13, v44, v86
	ds_read_b32 v13, v13
	v_mul_f32_e32 v6, v74, v37
	v_fmac_f32_e32 v6, v22, v36
	v_sub_f32_e32 v22, v67, v6
	s_waitcnt vmcnt(1)
	v_mul_f32_e32 v6, v21, v35
	ds_read2st64_b32 v[45:46], v45 offset1:30
	v_fma_f32 v6, v34, v73, -v6
	s_waitcnt lgkmcnt(1)
	v_sub_f32_e32 v36, v13, v6
	v_mul_f32_e32 v6, v73, v35
	v_fmac_f32_e32 v6, v21, v34
	v_sub_f32_e32 v35, v59, v6
	s_waitcnt vmcnt(0)
	v_mul_f32_e32 v6, v1, v33
	s_waitcnt lgkmcnt(0)
	v_fma_f32 v6, v32, v46, -v6
	v_sub_f32_e32 v34, v45, v6
	v_mul_f32_e32 v6, v46, v33
	v_fmac_f32_e32 v6, v1, v32
	v_sub_f32_e32 v8, v43, v8
	v_sub_f32_e32 v33, v0, v6
	v_fma_f32 v52, v43, 2.0, -v8
	v_fma_f32 v43, v59, 2.0, -v35
	v_fma_f32 v59, v0, 2.0, -v33
	v_mov_b32_e32 v0, s3
	v_add_co_u32_e32 v6, vcc, s2, v2
	v_fma_f32 v44, v13, 2.0, -v36
	v_addc_co_u32_e32 v13, vcc, v0, v3, vcc
	v_add_co_u32_e32 v0, vcc, v6, v30
	v_addc_co_u32_e32 v1, vcc, v13, v31, vcc
	v_add_co_u32_e32 v2, vcc, s0, v0
	v_fma_f32 v60, v45, 2.0, -v34
	v_addc_co_u32_e32 v3, vcc, 0, v1, vcc
	global_store_dwordx2 v[0:1], v[59:60], off
	global_store_dwordx2 v[2:3], v[33:34], off offset:3072
	global_store_dwordx2 v[0:1], v[43:44], off offset:1024
	v_or_b32_e32 v2, 0x4000, v90
	v_add_co_u32_e32 v2, vcc, v6, v2
	v_addc_co_u32_e32 v3, vcc, 0, v13, vcc
	v_fma_f32 v37, v67, 2.0, -v22
	global_store_dwordx2 v[2:3], v[35:36], off
	global_store_dwordx2 v[0:1], v[37:38], off offset:2048
	v_or_b32_e32 v2, 0x4400, v90
	v_add_co_u32_e32 v2, vcc, v6, v2
	v_addc_co_u32_e32 v3, vcc, 0, v13, vcc
	v_fma_f32 v64, v69, 2.0, -v53
	v_fma_f32 v69, v85, 2.0, -v18
	;; [unrolled: 1-line block ×3, first 2 shown]
	global_store_dwordx2 v[2:3], v[22:23], off
	global_store_dwordx2 v[0:1], v[68:69], off offset:3072
	v_or_b32_e32 v0, 0x4800, v90
	v_add_co_u32_e32 v0, vcc, v6, v0
	v_addc_co_u32_e32 v1, vcc, 0, v13, vcc
	global_store_dwordx2 v[0:1], v[17:18], off
	v_or_b32_e32 v0, 0x1000, v90
	v_sub_f32_e32 v7, v72, v7
	v_add_co_u32_e32 v0, vcc, v6, v0
	v_fma_f32 v51, v72, 2.0, -v7
	v_fma_f32 v72, v62, 2.0, -v27
	;; [unrolled: 1-line block ×4, first 2 shown]
	v_addc_co_u32_e32 v1, vcc, 0, v13, vcc
	global_store_dwordx2 v[0:1], v[61:62], off
	v_or_b32_e32 v0, 0x4c00, v90
	v_add_co_u32_e32 v0, vcc, v6, v0
	v_addc_co_u32_e32 v1, vcc, 0, v13, vcc
	global_store_dwordx2 v[0:1], v[24:25], off
	v_or_b32_e32 v0, 0x1400, v90
	v_add_co_u32_e32 v0, vcc, v6, v0
	v_fma_f32 v65, v88, 2.0, -v54
	v_addc_co_u32_e32 v1, vcc, 0, v13, vcc
	global_store_dwordx2 v[0:1], v[64:65], off
	v_or_b32_e32 v0, 0x5000, v90
	v_add_co_u32_e32 v0, vcc, v6, v0
	v_addc_co_u32_e32 v1, vcc, 0, v13, vcc
	global_store_dwordx2 v[0:1], v[53:54], off
	v_or_b32_e32 v0, 0x1800, v90
	v_add_co_u32_e32 v0, vcc, v6, v0
	v_fma_f32 v71, v71, 2.0, -v26
	v_addc_co_u32_e32 v1, vcc, 0, v13, vcc
	global_store_dwordx2 v[0:1], v[71:72], off
	v_or_b32_e32 v0, 0x5400, v90
	v_add_co_u32_e32 v0, vcc, v6, v0
	v_addc_co_u32_e32 v1, vcc, 0, v13, vcc
	global_store_dwordx2 v[0:1], v[26:27], off
	v_or_b32_e32 v0, 0x1c00, v90
	v_add_co_u32_e32 v0, vcc, v6, v0
	v_addc_co_u32_e32 v1, vcc, 0, v13, vcc
	global_store_dwordx2 v[0:1], v[51:52], off
	v_add_co_u32_e32 v0, vcc, s0, v0
	v_addc_co_u32_e32 v1, vcc, 0, v1, vcc
	global_store_dwordx2 v[0:1], v[7:8], off offset:3072
	v_or_b32_e32 v0, 0x2000, v90
	v_add_co_u32_e32 v0, vcc, v6, v0
	v_fma_f32 v29, v29, 2.0, -v5
	v_addc_co_u32_e32 v1, vcc, 0, v13, vcc
	global_store_dwordx2 v[0:1], v[28:29], off
	v_or_b32_e32 v0, 0x5c00, v90
	v_add_co_u32_e32 v0, vcc, v6, v0
	v_addc_co_u32_e32 v1, vcc, 0, v13, vcc
	global_store_dwordx2 v[0:1], v[4:5], off
	v_or_b32_e32 v0, 0x2400, v90
	v_add_co_u32_e32 v0, vcc, v6, v0
	;; [unrolled: 4-line block ×13, first 2 shown]
	v_addc_co_u32_e32 v1, vcc, 0, v13, vcc
	global_store_dwordx2 v[0:1], v[19:20], off
.LBB0_15:
	s_endpgm
	.section	.rodata,"a",@progbits
	.p2align	6, 0x0
	.amdhsa_kernel fft_rtc_back_len3840_factors_10_6_2_2_2_2_2_2_wgs_128_tpt_128_halfLds_sp_ip_CI_unitstride_sbrr_dirReg
		.amdhsa_group_segment_fixed_size 0
		.amdhsa_private_segment_fixed_size 0
		.amdhsa_kernarg_size 88
		.amdhsa_user_sgpr_count 6
		.amdhsa_user_sgpr_private_segment_buffer 1
		.amdhsa_user_sgpr_dispatch_ptr 0
		.amdhsa_user_sgpr_queue_ptr 0
		.amdhsa_user_sgpr_kernarg_segment_ptr 1
		.amdhsa_user_sgpr_dispatch_id 0
		.amdhsa_user_sgpr_flat_scratch_init 0
		.amdhsa_user_sgpr_private_segment_size 0
		.amdhsa_uses_dynamic_stack 0
		.amdhsa_system_sgpr_private_segment_wavefront_offset 0
		.amdhsa_system_sgpr_workgroup_id_x 1
		.amdhsa_system_sgpr_workgroup_id_y 0
		.amdhsa_system_sgpr_workgroup_id_z 0
		.amdhsa_system_sgpr_workgroup_info 0
		.amdhsa_system_vgpr_workitem_id 0
		.amdhsa_next_free_vgpr 156
		.amdhsa_next_free_sgpr 22
		.amdhsa_reserve_vcc 1
		.amdhsa_reserve_flat_scratch 0
		.amdhsa_float_round_mode_32 0
		.amdhsa_float_round_mode_16_64 0
		.amdhsa_float_denorm_mode_32 3
		.amdhsa_float_denorm_mode_16_64 3
		.amdhsa_dx10_clamp 1
		.amdhsa_ieee_mode 1
		.amdhsa_fp16_overflow 0
		.amdhsa_exception_fp_ieee_invalid_op 0
		.amdhsa_exception_fp_denorm_src 0
		.amdhsa_exception_fp_ieee_div_zero 0
		.amdhsa_exception_fp_ieee_overflow 0
		.amdhsa_exception_fp_ieee_underflow 0
		.amdhsa_exception_fp_ieee_inexact 0
		.amdhsa_exception_int_div_zero 0
	.end_amdhsa_kernel
	.text
.Lfunc_end0:
	.size	fft_rtc_back_len3840_factors_10_6_2_2_2_2_2_2_wgs_128_tpt_128_halfLds_sp_ip_CI_unitstride_sbrr_dirReg, .Lfunc_end0-fft_rtc_back_len3840_factors_10_6_2_2_2_2_2_2_wgs_128_tpt_128_halfLds_sp_ip_CI_unitstride_sbrr_dirReg
                                        ; -- End function
	.section	.AMDGPU.csdata,"",@progbits
; Kernel info:
; codeLenInByte = 20696
; NumSgprs: 26
; NumVgprs: 156
; ScratchSize: 0
; MemoryBound: 0
; FloatMode: 240
; IeeeMode: 1
; LDSByteSize: 0 bytes/workgroup (compile time only)
; SGPRBlocks: 3
; VGPRBlocks: 38
; NumSGPRsForWavesPerEU: 26
; NumVGPRsForWavesPerEU: 156
; Occupancy: 1
; WaveLimiterHint : 1
; COMPUTE_PGM_RSRC2:SCRATCH_EN: 0
; COMPUTE_PGM_RSRC2:USER_SGPR: 6
; COMPUTE_PGM_RSRC2:TRAP_HANDLER: 0
; COMPUTE_PGM_RSRC2:TGID_X_EN: 1
; COMPUTE_PGM_RSRC2:TGID_Y_EN: 0
; COMPUTE_PGM_RSRC2:TGID_Z_EN: 0
; COMPUTE_PGM_RSRC2:TIDIG_COMP_CNT: 0
	.type	__hip_cuid_72d60b207c262d57,@object ; @__hip_cuid_72d60b207c262d57
	.section	.bss,"aw",@nobits
	.globl	__hip_cuid_72d60b207c262d57
__hip_cuid_72d60b207c262d57:
	.byte	0                               ; 0x0
	.size	__hip_cuid_72d60b207c262d57, 1

	.ident	"AMD clang version 19.0.0git (https://github.com/RadeonOpenCompute/llvm-project roc-6.4.0 25133 c7fe45cf4b819c5991fe208aaa96edf142730f1d)"
	.section	".note.GNU-stack","",@progbits
	.addrsig
	.addrsig_sym __hip_cuid_72d60b207c262d57
	.amdgpu_metadata
---
amdhsa.kernels:
  - .args:
      - .actual_access:  read_only
        .address_space:  global
        .offset:         0
        .size:           8
        .value_kind:     global_buffer
      - .offset:         8
        .size:           8
        .value_kind:     by_value
      - .actual_access:  read_only
        .address_space:  global
        .offset:         16
        .size:           8
        .value_kind:     global_buffer
      - .actual_access:  read_only
        .address_space:  global
        .offset:         24
        .size:           8
        .value_kind:     global_buffer
      - .offset:         32
        .size:           8
        .value_kind:     by_value
      - .actual_access:  read_only
        .address_space:  global
        .offset:         40
        .size:           8
        .value_kind:     global_buffer
      - .actual_access:  read_only
        .address_space:  global
        .offset:         48
        .size:           8
        .value_kind:     global_buffer
      - .offset:         56
        .size:           4
        .value_kind:     by_value
      - .actual_access:  read_only
        .address_space:  global
        .offset:         64
        .size:           8
        .value_kind:     global_buffer
      - .actual_access:  read_only
        .address_space:  global
        .offset:         72
        .size:           8
        .value_kind:     global_buffer
      - .address_space:  global
        .offset:         80
        .size:           8
        .value_kind:     global_buffer
    .group_segment_fixed_size: 0
    .kernarg_segment_align: 8
    .kernarg_segment_size: 88
    .language:       OpenCL C
    .language_version:
      - 2
      - 0
    .max_flat_workgroup_size: 128
    .name:           fft_rtc_back_len3840_factors_10_6_2_2_2_2_2_2_wgs_128_tpt_128_halfLds_sp_ip_CI_unitstride_sbrr_dirReg
    .private_segment_fixed_size: 0
    .sgpr_count:     26
    .sgpr_spill_count: 0
    .symbol:         fft_rtc_back_len3840_factors_10_6_2_2_2_2_2_2_wgs_128_tpt_128_halfLds_sp_ip_CI_unitstride_sbrr_dirReg.kd
    .uniform_work_group_size: 1
    .uses_dynamic_stack: false
    .vgpr_count:     156
    .vgpr_spill_count: 0
    .wavefront_size: 64
amdhsa.target:   amdgcn-amd-amdhsa--gfx906
amdhsa.version:
  - 1
  - 2
...

	.end_amdgpu_metadata
